;; amdgpu-corpus repo=ROCm/rocSPARSE kind=compiled arch=gfx1250 opt=O3
	.amdgcn_target "amdgcn-amd-amdhsa--gfx1250"
	.amdhsa_code_object_version 6
	.section	.text._ZN9rocsparseL16ell2dense_kernelILi16ELi32EiDF16_EEv21rocsparse_index_base_T1_S2_S2_PKT2_PKS2_PS3_l16rocsparse_order_,"axG",@progbits,_ZN9rocsparseL16ell2dense_kernelILi16ELi32EiDF16_EEv21rocsparse_index_base_T1_S2_S2_PKT2_PKS2_PS3_l16rocsparse_order_,comdat
	.globl	_ZN9rocsparseL16ell2dense_kernelILi16ELi32EiDF16_EEv21rocsparse_index_base_T1_S2_S2_PKT2_PKS2_PS3_l16rocsparse_order_ ; -- Begin function _ZN9rocsparseL16ell2dense_kernelILi16ELi32EiDF16_EEv21rocsparse_index_base_T1_S2_S2_PKT2_PKS2_PS3_l16rocsparse_order_
	.p2align	8
	.type	_ZN9rocsparseL16ell2dense_kernelILi16ELi32EiDF16_EEv21rocsparse_index_base_T1_S2_S2_PKT2_PKS2_PS3_l16rocsparse_order_,@function
_ZN9rocsparseL16ell2dense_kernelILi16ELi32EiDF16_EEv21rocsparse_index_base_T1_S2_S2_PKT2_PKS2_PS3_l16rocsparse_order_: ; @_ZN9rocsparseL16ell2dense_kernelILi16ELi32EiDF16_EEv21rocsparse_index_base_T1_S2_S2_PKT2_PKS2_PS3_l16rocsparse_order_
; %bb.0:
	s_load_b128 s[12:15], s[0:1], 0x0
	s_bfe_u32 s2, ttmp6, 0x4000c
	s_and_b32 s3, ttmp6, 15
	s_add_co_i32 s2, s2, 1
	s_getreg_b32 s4, hwreg(HW_REG_IB_STS2, 6, 4)
	s_mul_i32 s2, ttmp9, s2
	v_lshrrev_b32_e32 v1, 5, v0
	s_add_co_i32 s3, s3, s2
	s_cmp_eq_u32 s4, 0
	s_cselect_b32 s2, ttmp9, s3
	s_delay_alu instid0(VALU_DEP_1) | instid1(SALU_CYCLE_1)
	v_lshl_or_b32 v1, s2, 4, v1
	s_mov_b32 s2, exec_lo
	s_wait_kmcnt 0x0
	s_delay_alu instid0(VALU_DEP_1)
	v_cmpx_gt_u32_e64 s15, v1
	s_cbranch_execz .LBB0_6
; %bb.1:
	v_and_b32_e32 v2, 31, v0
	s_delay_alu instid0(VALU_DEP_1)
	v_cmp_gt_i32_e32 vcc_lo, s13, v2
	s_and_b32 exec_lo, exec_lo, vcc_lo
	s_cbranch_execz .LBB0_6
; %bb.2:
	s_clause 0x1
	s_load_b32 s2, s[0:1], 0x30
	s_load_b256 s[4:11], s[0:1], 0x10
	v_mul_lo_u32 v3, s13, v1
	v_mov_b32_e32 v1, 0
	s_wait_kmcnt 0x0
	s_cmp_eq_u32 s2, 1
	s_mov_b32 s2, 0
	s_cselect_b32 vcc_lo, -1, 0
	s_branch .LBB0_4
.LBB0_3:                                ;   in Loop: Header=BB0_4 Depth=1
	s_wait_xcnt 0x0
	s_or_b32 exec_lo, exec_lo, s0
	v_add_nc_u32_e32 v2, 32, v2
	s_delay_alu instid0(VALU_DEP_1) | instskip(SKIP_1) | instid1(SALU_CYCLE_1)
	v_cmp_le_i32_e64 s0, s13, v2
	s_or_b32 s2, s0, s2
	s_and_not1_b32 exec_lo, exec_lo, s2
	s_cbranch_execz .LBB0_6
.LBB0_4:                                ; =>This Inner Loop Header: Depth=1
	s_delay_alu instid0(VALU_DEP_2) | instskip(SKIP_3) | instid1(VALU_DEP_1)
	v_add_nc_u32_e32 v0, v3, v2
	global_load_b32 v4, v0, s[6:7] scale_offset
	s_wait_loadcnt 0x0
	v_subrev_nc_u32_e32 v4, s12, v4
	v_cmp_lt_i32_e64 s0, -1, v4
	v_cmp_gt_i32_e64 s1, s14, v4
	s_and_b32 s1, s0, s1
	s_wait_xcnt 0x0
	s_and_saveexec_b32 s0, s1
	s_cbranch_execz .LBB0_3
; %bb.5:                                ;   in Loop: Header=BB0_4 Depth=1
	v_lshl_add_u64 v[6:7], v[0:1], 1, s[4:5]
	v_dual_cndmask_b32 v0, v2, v4, vcc_lo :: v_dual_cndmask_b32 v4, v4, v2, vcc_lo
	v_mov_b32_e32 v5, v1
	global_load_u16 v8, v[6:7], off
	s_wait_xcnt 0x0
	v_mul_u64_e32 v[6:7], s[10:11], v[0:1]
	s_delay_alu instid0(VALU_DEP_1) | instskip(NEXT) | instid1(VALU_DEP_1)
	v_lshl_add_u64 v[6:7], v[6:7], 1, s[8:9]
	v_lshl_add_u64 v[4:5], v[4:5], 1, v[6:7]
	s_wait_loadcnt 0x0
	global_store_b16 v[4:5], v8, off
	s_branch .LBB0_3
.LBB0_6:
	s_endpgm
	.section	.rodata,"a",@progbits
	.p2align	6, 0x0
	.amdhsa_kernel _ZN9rocsparseL16ell2dense_kernelILi16ELi32EiDF16_EEv21rocsparse_index_base_T1_S2_S2_PKT2_PKS2_PS3_l16rocsparse_order_
		.amdhsa_group_segment_fixed_size 0
		.amdhsa_private_segment_fixed_size 0
		.amdhsa_kernarg_size 52
		.amdhsa_user_sgpr_count 2
		.amdhsa_user_sgpr_dispatch_ptr 0
		.amdhsa_user_sgpr_queue_ptr 0
		.amdhsa_user_sgpr_kernarg_segment_ptr 1
		.amdhsa_user_sgpr_dispatch_id 0
		.amdhsa_user_sgpr_kernarg_preload_length 0
		.amdhsa_user_sgpr_kernarg_preload_offset 0
		.amdhsa_user_sgpr_private_segment_size 0
		.amdhsa_wavefront_size32 1
		.amdhsa_uses_dynamic_stack 0
		.amdhsa_enable_private_segment 0
		.amdhsa_system_sgpr_workgroup_id_x 1
		.amdhsa_system_sgpr_workgroup_id_y 0
		.amdhsa_system_sgpr_workgroup_id_z 0
		.amdhsa_system_sgpr_workgroup_info 0
		.amdhsa_system_vgpr_workitem_id 0
		.amdhsa_next_free_vgpr 9
		.amdhsa_next_free_sgpr 16
		.amdhsa_named_barrier_count 0
		.amdhsa_reserve_vcc 1
		.amdhsa_float_round_mode_32 0
		.amdhsa_float_round_mode_16_64 0
		.amdhsa_float_denorm_mode_32 3
		.amdhsa_float_denorm_mode_16_64 3
		.amdhsa_fp16_overflow 0
		.amdhsa_memory_ordered 1
		.amdhsa_forward_progress 1
		.amdhsa_inst_pref_size 3
		.amdhsa_round_robin_scheduling 0
		.amdhsa_exception_fp_ieee_invalid_op 0
		.amdhsa_exception_fp_denorm_src 0
		.amdhsa_exception_fp_ieee_div_zero 0
		.amdhsa_exception_fp_ieee_overflow 0
		.amdhsa_exception_fp_ieee_underflow 0
		.amdhsa_exception_fp_ieee_inexact 0
		.amdhsa_exception_int_div_zero 0
	.end_amdhsa_kernel
	.section	.text._ZN9rocsparseL16ell2dense_kernelILi16ELi32EiDF16_EEv21rocsparse_index_base_T1_S2_S2_PKT2_PKS2_PS3_l16rocsparse_order_,"axG",@progbits,_ZN9rocsparseL16ell2dense_kernelILi16ELi32EiDF16_EEv21rocsparse_index_base_T1_S2_S2_PKT2_PKS2_PS3_l16rocsparse_order_,comdat
.Lfunc_end0:
	.size	_ZN9rocsparseL16ell2dense_kernelILi16ELi32EiDF16_EEv21rocsparse_index_base_T1_S2_S2_PKT2_PKS2_PS3_l16rocsparse_order_, .Lfunc_end0-_ZN9rocsparseL16ell2dense_kernelILi16ELi32EiDF16_EEv21rocsparse_index_base_T1_S2_S2_PKT2_PKS2_PS3_l16rocsparse_order_
                                        ; -- End function
	.set _ZN9rocsparseL16ell2dense_kernelILi16ELi32EiDF16_EEv21rocsparse_index_base_T1_S2_S2_PKT2_PKS2_PS3_l16rocsparse_order_.num_vgpr, 9
	.set _ZN9rocsparseL16ell2dense_kernelILi16ELi32EiDF16_EEv21rocsparse_index_base_T1_S2_S2_PKT2_PKS2_PS3_l16rocsparse_order_.num_agpr, 0
	.set _ZN9rocsparseL16ell2dense_kernelILi16ELi32EiDF16_EEv21rocsparse_index_base_T1_S2_S2_PKT2_PKS2_PS3_l16rocsparse_order_.numbered_sgpr, 16
	.set _ZN9rocsparseL16ell2dense_kernelILi16ELi32EiDF16_EEv21rocsparse_index_base_T1_S2_S2_PKT2_PKS2_PS3_l16rocsparse_order_.num_named_barrier, 0
	.set _ZN9rocsparseL16ell2dense_kernelILi16ELi32EiDF16_EEv21rocsparse_index_base_T1_S2_S2_PKT2_PKS2_PS3_l16rocsparse_order_.private_seg_size, 0
	.set _ZN9rocsparseL16ell2dense_kernelILi16ELi32EiDF16_EEv21rocsparse_index_base_T1_S2_S2_PKT2_PKS2_PS3_l16rocsparse_order_.uses_vcc, 1
	.set _ZN9rocsparseL16ell2dense_kernelILi16ELi32EiDF16_EEv21rocsparse_index_base_T1_S2_S2_PKT2_PKS2_PS3_l16rocsparse_order_.uses_flat_scratch, 0
	.set _ZN9rocsparseL16ell2dense_kernelILi16ELi32EiDF16_EEv21rocsparse_index_base_T1_S2_S2_PKT2_PKS2_PS3_l16rocsparse_order_.has_dyn_sized_stack, 0
	.set _ZN9rocsparseL16ell2dense_kernelILi16ELi32EiDF16_EEv21rocsparse_index_base_T1_S2_S2_PKT2_PKS2_PS3_l16rocsparse_order_.has_recursion, 0
	.set _ZN9rocsparseL16ell2dense_kernelILi16ELi32EiDF16_EEv21rocsparse_index_base_T1_S2_S2_PKT2_PKS2_PS3_l16rocsparse_order_.has_indirect_call, 0
	.section	.AMDGPU.csdata,"",@progbits
; Kernel info:
; codeLenInByte = 340
; TotalNumSgprs: 18
; NumVgprs: 9
; ScratchSize: 0
; MemoryBound: 0
; FloatMode: 240
; IeeeMode: 1
; LDSByteSize: 0 bytes/workgroup (compile time only)
; SGPRBlocks: 0
; VGPRBlocks: 0
; NumSGPRsForWavesPerEU: 18
; NumVGPRsForWavesPerEU: 9
; NamedBarCnt: 0
; Occupancy: 16
; WaveLimiterHint : 1
; COMPUTE_PGM_RSRC2:SCRATCH_EN: 0
; COMPUTE_PGM_RSRC2:USER_SGPR: 2
; COMPUTE_PGM_RSRC2:TRAP_HANDLER: 0
; COMPUTE_PGM_RSRC2:TGID_X_EN: 1
; COMPUTE_PGM_RSRC2:TGID_Y_EN: 0
; COMPUTE_PGM_RSRC2:TGID_Z_EN: 0
; COMPUTE_PGM_RSRC2:TIDIG_COMP_CNT: 0
	.section	.text._ZN9rocsparseL16ell2dense_kernelILi16ELi64EiDF16_EEv21rocsparse_index_base_T1_S2_S2_PKT2_PKS2_PS3_l16rocsparse_order_,"axG",@progbits,_ZN9rocsparseL16ell2dense_kernelILi16ELi64EiDF16_EEv21rocsparse_index_base_T1_S2_S2_PKT2_PKS2_PS3_l16rocsparse_order_,comdat
	.globl	_ZN9rocsparseL16ell2dense_kernelILi16ELi64EiDF16_EEv21rocsparse_index_base_T1_S2_S2_PKT2_PKS2_PS3_l16rocsparse_order_ ; -- Begin function _ZN9rocsparseL16ell2dense_kernelILi16ELi64EiDF16_EEv21rocsparse_index_base_T1_S2_S2_PKT2_PKS2_PS3_l16rocsparse_order_
	.p2align	8
	.type	_ZN9rocsparseL16ell2dense_kernelILi16ELi64EiDF16_EEv21rocsparse_index_base_T1_S2_S2_PKT2_PKS2_PS3_l16rocsparse_order_,@function
_ZN9rocsparseL16ell2dense_kernelILi16ELi64EiDF16_EEv21rocsparse_index_base_T1_S2_S2_PKT2_PKS2_PS3_l16rocsparse_order_: ; @_ZN9rocsparseL16ell2dense_kernelILi16ELi64EiDF16_EEv21rocsparse_index_base_T1_S2_S2_PKT2_PKS2_PS3_l16rocsparse_order_
; %bb.0:
	s_load_b128 s[12:15], s[0:1], 0x0
	s_bfe_u32 s2, ttmp6, 0x4000c
	s_and_b32 s3, ttmp6, 15
	s_add_co_i32 s2, s2, 1
	s_getreg_b32 s4, hwreg(HW_REG_IB_STS2, 6, 4)
	s_mul_i32 s2, ttmp9, s2
	v_lshrrev_b32_e32 v1, 6, v0
	s_add_co_i32 s3, s3, s2
	s_cmp_eq_u32 s4, 0
	s_cselect_b32 s2, ttmp9, s3
	s_delay_alu instid0(VALU_DEP_1) | instid1(SALU_CYCLE_1)
	v_lshl_or_b32 v1, s2, 4, v1
	s_mov_b32 s2, exec_lo
	s_wait_kmcnt 0x0
	s_delay_alu instid0(VALU_DEP_1)
	v_cmpx_gt_u32_e64 s15, v1
	s_cbranch_execz .LBB1_6
; %bb.1:
	v_and_b32_e32 v2, 63, v0
	s_delay_alu instid0(VALU_DEP_1)
	v_cmp_gt_i32_e32 vcc_lo, s13, v2
	s_and_b32 exec_lo, exec_lo, vcc_lo
	s_cbranch_execz .LBB1_6
; %bb.2:
	s_clause 0x1
	s_load_b32 s2, s[0:1], 0x30
	s_load_b256 s[4:11], s[0:1], 0x10
	v_mul_lo_u32 v3, s13, v1
	v_mov_b32_e32 v1, 0
	s_wait_kmcnt 0x0
	s_cmp_eq_u32 s2, 1
	s_mov_b32 s2, 0
	s_cselect_b32 vcc_lo, -1, 0
	s_branch .LBB1_4
.LBB1_3:                                ;   in Loop: Header=BB1_4 Depth=1
	s_wait_xcnt 0x0
	s_or_b32 exec_lo, exec_lo, s0
	v_add_nc_u32_e32 v2, 64, v2
	s_delay_alu instid0(VALU_DEP_1) | instskip(SKIP_1) | instid1(SALU_CYCLE_1)
	v_cmp_le_i32_e64 s0, s13, v2
	s_or_b32 s2, s0, s2
	s_and_not1_b32 exec_lo, exec_lo, s2
	s_cbranch_execz .LBB1_6
.LBB1_4:                                ; =>This Inner Loop Header: Depth=1
	s_delay_alu instid0(VALU_DEP_2) | instskip(SKIP_3) | instid1(VALU_DEP_1)
	v_add_nc_u32_e32 v0, v3, v2
	global_load_b32 v4, v0, s[6:7] scale_offset
	s_wait_loadcnt 0x0
	v_subrev_nc_u32_e32 v4, s12, v4
	v_cmp_lt_i32_e64 s0, -1, v4
	v_cmp_gt_i32_e64 s1, s14, v4
	s_and_b32 s1, s0, s1
	s_wait_xcnt 0x0
	s_and_saveexec_b32 s0, s1
	s_cbranch_execz .LBB1_3
; %bb.5:                                ;   in Loop: Header=BB1_4 Depth=1
	v_lshl_add_u64 v[6:7], v[0:1], 1, s[4:5]
	v_dual_cndmask_b32 v0, v2, v4, vcc_lo :: v_dual_cndmask_b32 v4, v4, v2, vcc_lo
	v_mov_b32_e32 v5, v1
	global_load_u16 v8, v[6:7], off
	s_wait_xcnt 0x0
	v_mul_u64_e32 v[6:7], s[10:11], v[0:1]
	s_delay_alu instid0(VALU_DEP_1) | instskip(NEXT) | instid1(VALU_DEP_1)
	v_lshl_add_u64 v[6:7], v[6:7], 1, s[8:9]
	v_lshl_add_u64 v[4:5], v[4:5], 1, v[6:7]
	s_wait_loadcnt 0x0
	global_store_b16 v[4:5], v8, off
	s_branch .LBB1_3
.LBB1_6:
	s_endpgm
	.section	.rodata,"a",@progbits
	.p2align	6, 0x0
	.amdhsa_kernel _ZN9rocsparseL16ell2dense_kernelILi16ELi64EiDF16_EEv21rocsparse_index_base_T1_S2_S2_PKT2_PKS2_PS3_l16rocsparse_order_
		.amdhsa_group_segment_fixed_size 0
		.amdhsa_private_segment_fixed_size 0
		.amdhsa_kernarg_size 52
		.amdhsa_user_sgpr_count 2
		.amdhsa_user_sgpr_dispatch_ptr 0
		.amdhsa_user_sgpr_queue_ptr 0
		.amdhsa_user_sgpr_kernarg_segment_ptr 1
		.amdhsa_user_sgpr_dispatch_id 0
		.amdhsa_user_sgpr_kernarg_preload_length 0
		.amdhsa_user_sgpr_kernarg_preload_offset 0
		.amdhsa_user_sgpr_private_segment_size 0
		.amdhsa_wavefront_size32 1
		.amdhsa_uses_dynamic_stack 0
		.amdhsa_enable_private_segment 0
		.amdhsa_system_sgpr_workgroup_id_x 1
		.amdhsa_system_sgpr_workgroup_id_y 0
		.amdhsa_system_sgpr_workgroup_id_z 0
		.amdhsa_system_sgpr_workgroup_info 0
		.amdhsa_system_vgpr_workitem_id 0
		.amdhsa_next_free_vgpr 9
		.amdhsa_next_free_sgpr 16
		.amdhsa_named_barrier_count 0
		.amdhsa_reserve_vcc 1
		.amdhsa_float_round_mode_32 0
		.amdhsa_float_round_mode_16_64 0
		.amdhsa_float_denorm_mode_32 3
		.amdhsa_float_denorm_mode_16_64 3
		.amdhsa_fp16_overflow 0
		.amdhsa_memory_ordered 1
		.amdhsa_forward_progress 1
		.amdhsa_inst_pref_size 3
		.amdhsa_round_robin_scheduling 0
		.amdhsa_exception_fp_ieee_invalid_op 0
		.amdhsa_exception_fp_denorm_src 0
		.amdhsa_exception_fp_ieee_div_zero 0
		.amdhsa_exception_fp_ieee_overflow 0
		.amdhsa_exception_fp_ieee_underflow 0
		.amdhsa_exception_fp_ieee_inexact 0
		.amdhsa_exception_int_div_zero 0
	.end_amdhsa_kernel
	.section	.text._ZN9rocsparseL16ell2dense_kernelILi16ELi64EiDF16_EEv21rocsparse_index_base_T1_S2_S2_PKT2_PKS2_PS3_l16rocsparse_order_,"axG",@progbits,_ZN9rocsparseL16ell2dense_kernelILi16ELi64EiDF16_EEv21rocsparse_index_base_T1_S2_S2_PKT2_PKS2_PS3_l16rocsparse_order_,comdat
.Lfunc_end1:
	.size	_ZN9rocsparseL16ell2dense_kernelILi16ELi64EiDF16_EEv21rocsparse_index_base_T1_S2_S2_PKT2_PKS2_PS3_l16rocsparse_order_, .Lfunc_end1-_ZN9rocsparseL16ell2dense_kernelILi16ELi64EiDF16_EEv21rocsparse_index_base_T1_S2_S2_PKT2_PKS2_PS3_l16rocsparse_order_
                                        ; -- End function
	.set _ZN9rocsparseL16ell2dense_kernelILi16ELi64EiDF16_EEv21rocsparse_index_base_T1_S2_S2_PKT2_PKS2_PS3_l16rocsparse_order_.num_vgpr, 9
	.set _ZN9rocsparseL16ell2dense_kernelILi16ELi64EiDF16_EEv21rocsparse_index_base_T1_S2_S2_PKT2_PKS2_PS3_l16rocsparse_order_.num_agpr, 0
	.set _ZN9rocsparseL16ell2dense_kernelILi16ELi64EiDF16_EEv21rocsparse_index_base_T1_S2_S2_PKT2_PKS2_PS3_l16rocsparse_order_.numbered_sgpr, 16
	.set _ZN9rocsparseL16ell2dense_kernelILi16ELi64EiDF16_EEv21rocsparse_index_base_T1_S2_S2_PKT2_PKS2_PS3_l16rocsparse_order_.num_named_barrier, 0
	.set _ZN9rocsparseL16ell2dense_kernelILi16ELi64EiDF16_EEv21rocsparse_index_base_T1_S2_S2_PKT2_PKS2_PS3_l16rocsparse_order_.private_seg_size, 0
	.set _ZN9rocsparseL16ell2dense_kernelILi16ELi64EiDF16_EEv21rocsparse_index_base_T1_S2_S2_PKT2_PKS2_PS3_l16rocsparse_order_.uses_vcc, 1
	.set _ZN9rocsparseL16ell2dense_kernelILi16ELi64EiDF16_EEv21rocsparse_index_base_T1_S2_S2_PKT2_PKS2_PS3_l16rocsparse_order_.uses_flat_scratch, 0
	.set _ZN9rocsparseL16ell2dense_kernelILi16ELi64EiDF16_EEv21rocsparse_index_base_T1_S2_S2_PKT2_PKS2_PS3_l16rocsparse_order_.has_dyn_sized_stack, 0
	.set _ZN9rocsparseL16ell2dense_kernelILi16ELi64EiDF16_EEv21rocsparse_index_base_T1_S2_S2_PKT2_PKS2_PS3_l16rocsparse_order_.has_recursion, 0
	.set _ZN9rocsparseL16ell2dense_kernelILi16ELi64EiDF16_EEv21rocsparse_index_base_T1_S2_S2_PKT2_PKS2_PS3_l16rocsparse_order_.has_indirect_call, 0
	.section	.AMDGPU.csdata,"",@progbits
; Kernel info:
; codeLenInByte = 340
; TotalNumSgprs: 18
; NumVgprs: 9
; ScratchSize: 0
; MemoryBound: 0
; FloatMode: 240
; IeeeMode: 1
; LDSByteSize: 0 bytes/workgroup (compile time only)
; SGPRBlocks: 0
; VGPRBlocks: 0
; NumSGPRsForWavesPerEU: 18
; NumVGPRsForWavesPerEU: 9
; NamedBarCnt: 0
; Occupancy: 16
; WaveLimiterHint : 1
; COMPUTE_PGM_RSRC2:SCRATCH_EN: 0
; COMPUTE_PGM_RSRC2:USER_SGPR: 2
; COMPUTE_PGM_RSRC2:TRAP_HANDLER: 0
; COMPUTE_PGM_RSRC2:TGID_X_EN: 1
; COMPUTE_PGM_RSRC2:TGID_Y_EN: 0
; COMPUTE_PGM_RSRC2:TGID_Z_EN: 0
; COMPUTE_PGM_RSRC2:TIDIG_COMP_CNT: 0
	.section	.text._ZN9rocsparseL16ell2dense_kernelILi16ELi32EifEEv21rocsparse_index_base_T1_S2_S2_PKT2_PKS2_PS3_l16rocsparse_order_,"axG",@progbits,_ZN9rocsparseL16ell2dense_kernelILi16ELi32EifEEv21rocsparse_index_base_T1_S2_S2_PKT2_PKS2_PS3_l16rocsparse_order_,comdat
	.globl	_ZN9rocsparseL16ell2dense_kernelILi16ELi32EifEEv21rocsparse_index_base_T1_S2_S2_PKT2_PKS2_PS3_l16rocsparse_order_ ; -- Begin function _ZN9rocsparseL16ell2dense_kernelILi16ELi32EifEEv21rocsparse_index_base_T1_S2_S2_PKT2_PKS2_PS3_l16rocsparse_order_
	.p2align	8
	.type	_ZN9rocsparseL16ell2dense_kernelILi16ELi32EifEEv21rocsparse_index_base_T1_S2_S2_PKT2_PKS2_PS3_l16rocsparse_order_,@function
_ZN9rocsparseL16ell2dense_kernelILi16ELi32EifEEv21rocsparse_index_base_T1_S2_S2_PKT2_PKS2_PS3_l16rocsparse_order_: ; @_ZN9rocsparseL16ell2dense_kernelILi16ELi32EifEEv21rocsparse_index_base_T1_S2_S2_PKT2_PKS2_PS3_l16rocsparse_order_
; %bb.0:
	s_load_b128 s[12:15], s[0:1], 0x0
	s_bfe_u32 s2, ttmp6, 0x4000c
	s_and_b32 s3, ttmp6, 15
	s_add_co_i32 s2, s2, 1
	s_getreg_b32 s4, hwreg(HW_REG_IB_STS2, 6, 4)
	s_mul_i32 s2, ttmp9, s2
	v_lshrrev_b32_e32 v1, 5, v0
	s_add_co_i32 s3, s3, s2
	s_cmp_eq_u32 s4, 0
	s_cselect_b32 s2, ttmp9, s3
	s_delay_alu instid0(VALU_DEP_1) | instid1(SALU_CYCLE_1)
	v_lshl_or_b32 v1, s2, 4, v1
	s_mov_b32 s2, exec_lo
	s_wait_kmcnt 0x0
	s_delay_alu instid0(VALU_DEP_1)
	v_cmpx_gt_u32_e64 s15, v1
	s_cbranch_execz .LBB2_6
; %bb.1:
	v_and_b32_e32 v2, 31, v0
	s_delay_alu instid0(VALU_DEP_1)
	v_cmp_gt_i32_e32 vcc_lo, s13, v2
	s_and_b32 exec_lo, exec_lo, vcc_lo
	s_cbranch_execz .LBB2_6
; %bb.2:
	s_clause 0x1
	s_load_b32 s2, s[0:1], 0x30
	s_load_b256 s[4:11], s[0:1], 0x10
	v_mul_lo_u32 v3, s13, v1
	v_mov_b32_e32 v1, 0
	s_wait_kmcnt 0x0
	s_cmp_eq_u32 s2, 1
	s_mov_b32 s2, 0
	s_cselect_b32 vcc_lo, -1, 0
	s_branch .LBB2_4
.LBB2_3:                                ;   in Loop: Header=BB2_4 Depth=1
	s_wait_xcnt 0x0
	s_or_b32 exec_lo, exec_lo, s0
	v_add_nc_u32_e32 v2, 32, v2
	s_delay_alu instid0(VALU_DEP_1) | instskip(SKIP_1) | instid1(SALU_CYCLE_1)
	v_cmp_le_i32_e64 s0, s13, v2
	s_or_b32 s2, s0, s2
	s_and_not1_b32 exec_lo, exec_lo, s2
	s_cbranch_execz .LBB2_6
.LBB2_4:                                ; =>This Inner Loop Header: Depth=1
	s_delay_alu instid0(VALU_DEP_2) | instskip(SKIP_3) | instid1(VALU_DEP_1)
	v_add_nc_u32_e32 v0, v3, v2
	global_load_b32 v4, v0, s[6:7] scale_offset
	s_wait_loadcnt 0x0
	v_subrev_nc_u32_e32 v4, s12, v4
	v_cmp_lt_i32_e64 s0, -1, v4
	v_cmp_gt_i32_e64 s1, s14, v4
	s_and_b32 s1, s0, s1
	s_wait_xcnt 0x0
	s_and_saveexec_b32 s0, s1
	s_cbranch_execz .LBB2_3
; %bb.5:                                ;   in Loop: Header=BB2_4 Depth=1
	v_lshl_add_u64 v[6:7], v[0:1], 2, s[4:5]
	v_dual_cndmask_b32 v0, v2, v4, vcc_lo :: v_dual_cndmask_b32 v4, v4, v2, vcc_lo
	v_mov_b32_e32 v5, v1
	global_load_b32 v8, v[6:7], off
	s_wait_xcnt 0x0
	v_mul_u64_e32 v[6:7], s[10:11], v[0:1]
	s_delay_alu instid0(VALU_DEP_1) | instskip(NEXT) | instid1(VALU_DEP_1)
	v_lshl_add_u64 v[6:7], v[6:7], 2, s[8:9]
	v_lshl_add_u64 v[4:5], v[4:5], 2, v[6:7]
	s_wait_loadcnt 0x0
	global_store_b32 v[4:5], v8, off
	s_branch .LBB2_3
.LBB2_6:
	s_endpgm
	.section	.rodata,"a",@progbits
	.p2align	6, 0x0
	.amdhsa_kernel _ZN9rocsparseL16ell2dense_kernelILi16ELi32EifEEv21rocsparse_index_base_T1_S2_S2_PKT2_PKS2_PS3_l16rocsparse_order_
		.amdhsa_group_segment_fixed_size 0
		.amdhsa_private_segment_fixed_size 0
		.amdhsa_kernarg_size 52
		.amdhsa_user_sgpr_count 2
		.amdhsa_user_sgpr_dispatch_ptr 0
		.amdhsa_user_sgpr_queue_ptr 0
		.amdhsa_user_sgpr_kernarg_segment_ptr 1
		.amdhsa_user_sgpr_dispatch_id 0
		.amdhsa_user_sgpr_kernarg_preload_length 0
		.amdhsa_user_sgpr_kernarg_preload_offset 0
		.amdhsa_user_sgpr_private_segment_size 0
		.amdhsa_wavefront_size32 1
		.amdhsa_uses_dynamic_stack 0
		.amdhsa_enable_private_segment 0
		.amdhsa_system_sgpr_workgroup_id_x 1
		.amdhsa_system_sgpr_workgroup_id_y 0
		.amdhsa_system_sgpr_workgroup_id_z 0
		.amdhsa_system_sgpr_workgroup_info 0
		.amdhsa_system_vgpr_workitem_id 0
		.amdhsa_next_free_vgpr 9
		.amdhsa_next_free_sgpr 16
		.amdhsa_named_barrier_count 0
		.amdhsa_reserve_vcc 1
		.amdhsa_float_round_mode_32 0
		.amdhsa_float_round_mode_16_64 0
		.amdhsa_float_denorm_mode_32 3
		.amdhsa_float_denorm_mode_16_64 3
		.amdhsa_fp16_overflow 0
		.amdhsa_memory_ordered 1
		.amdhsa_forward_progress 1
		.amdhsa_inst_pref_size 3
		.amdhsa_round_robin_scheduling 0
		.amdhsa_exception_fp_ieee_invalid_op 0
		.amdhsa_exception_fp_denorm_src 0
		.amdhsa_exception_fp_ieee_div_zero 0
		.amdhsa_exception_fp_ieee_overflow 0
		.amdhsa_exception_fp_ieee_underflow 0
		.amdhsa_exception_fp_ieee_inexact 0
		.amdhsa_exception_int_div_zero 0
	.end_amdhsa_kernel
	.section	.text._ZN9rocsparseL16ell2dense_kernelILi16ELi32EifEEv21rocsparse_index_base_T1_S2_S2_PKT2_PKS2_PS3_l16rocsparse_order_,"axG",@progbits,_ZN9rocsparseL16ell2dense_kernelILi16ELi32EifEEv21rocsparse_index_base_T1_S2_S2_PKT2_PKS2_PS3_l16rocsparse_order_,comdat
.Lfunc_end2:
	.size	_ZN9rocsparseL16ell2dense_kernelILi16ELi32EifEEv21rocsparse_index_base_T1_S2_S2_PKT2_PKS2_PS3_l16rocsparse_order_, .Lfunc_end2-_ZN9rocsparseL16ell2dense_kernelILi16ELi32EifEEv21rocsparse_index_base_T1_S2_S2_PKT2_PKS2_PS3_l16rocsparse_order_
                                        ; -- End function
	.set _ZN9rocsparseL16ell2dense_kernelILi16ELi32EifEEv21rocsparse_index_base_T1_S2_S2_PKT2_PKS2_PS3_l16rocsparse_order_.num_vgpr, 9
	.set _ZN9rocsparseL16ell2dense_kernelILi16ELi32EifEEv21rocsparse_index_base_T1_S2_S2_PKT2_PKS2_PS3_l16rocsparse_order_.num_agpr, 0
	.set _ZN9rocsparseL16ell2dense_kernelILi16ELi32EifEEv21rocsparse_index_base_T1_S2_S2_PKT2_PKS2_PS3_l16rocsparse_order_.numbered_sgpr, 16
	.set _ZN9rocsparseL16ell2dense_kernelILi16ELi32EifEEv21rocsparse_index_base_T1_S2_S2_PKT2_PKS2_PS3_l16rocsparse_order_.num_named_barrier, 0
	.set _ZN9rocsparseL16ell2dense_kernelILi16ELi32EifEEv21rocsparse_index_base_T1_S2_S2_PKT2_PKS2_PS3_l16rocsparse_order_.private_seg_size, 0
	.set _ZN9rocsparseL16ell2dense_kernelILi16ELi32EifEEv21rocsparse_index_base_T1_S2_S2_PKT2_PKS2_PS3_l16rocsparse_order_.uses_vcc, 1
	.set _ZN9rocsparseL16ell2dense_kernelILi16ELi32EifEEv21rocsparse_index_base_T1_S2_S2_PKT2_PKS2_PS3_l16rocsparse_order_.uses_flat_scratch, 0
	.set _ZN9rocsparseL16ell2dense_kernelILi16ELi32EifEEv21rocsparse_index_base_T1_S2_S2_PKT2_PKS2_PS3_l16rocsparse_order_.has_dyn_sized_stack, 0
	.set _ZN9rocsparseL16ell2dense_kernelILi16ELi32EifEEv21rocsparse_index_base_T1_S2_S2_PKT2_PKS2_PS3_l16rocsparse_order_.has_recursion, 0
	.set _ZN9rocsparseL16ell2dense_kernelILi16ELi32EifEEv21rocsparse_index_base_T1_S2_S2_PKT2_PKS2_PS3_l16rocsparse_order_.has_indirect_call, 0
	.section	.AMDGPU.csdata,"",@progbits
; Kernel info:
; codeLenInByte = 340
; TotalNumSgprs: 18
; NumVgprs: 9
; ScratchSize: 0
; MemoryBound: 0
; FloatMode: 240
; IeeeMode: 1
; LDSByteSize: 0 bytes/workgroup (compile time only)
; SGPRBlocks: 0
; VGPRBlocks: 0
; NumSGPRsForWavesPerEU: 18
; NumVGPRsForWavesPerEU: 9
; NamedBarCnt: 0
; Occupancy: 16
; WaveLimiterHint : 1
; COMPUTE_PGM_RSRC2:SCRATCH_EN: 0
; COMPUTE_PGM_RSRC2:USER_SGPR: 2
; COMPUTE_PGM_RSRC2:TRAP_HANDLER: 0
; COMPUTE_PGM_RSRC2:TGID_X_EN: 1
; COMPUTE_PGM_RSRC2:TGID_Y_EN: 0
; COMPUTE_PGM_RSRC2:TGID_Z_EN: 0
; COMPUTE_PGM_RSRC2:TIDIG_COMP_CNT: 0
	.section	.text._ZN9rocsparseL16ell2dense_kernelILi16ELi64EifEEv21rocsparse_index_base_T1_S2_S2_PKT2_PKS2_PS3_l16rocsparse_order_,"axG",@progbits,_ZN9rocsparseL16ell2dense_kernelILi16ELi64EifEEv21rocsparse_index_base_T1_S2_S2_PKT2_PKS2_PS3_l16rocsparse_order_,comdat
	.globl	_ZN9rocsparseL16ell2dense_kernelILi16ELi64EifEEv21rocsparse_index_base_T1_S2_S2_PKT2_PKS2_PS3_l16rocsparse_order_ ; -- Begin function _ZN9rocsparseL16ell2dense_kernelILi16ELi64EifEEv21rocsparse_index_base_T1_S2_S2_PKT2_PKS2_PS3_l16rocsparse_order_
	.p2align	8
	.type	_ZN9rocsparseL16ell2dense_kernelILi16ELi64EifEEv21rocsparse_index_base_T1_S2_S2_PKT2_PKS2_PS3_l16rocsparse_order_,@function
_ZN9rocsparseL16ell2dense_kernelILi16ELi64EifEEv21rocsparse_index_base_T1_S2_S2_PKT2_PKS2_PS3_l16rocsparse_order_: ; @_ZN9rocsparseL16ell2dense_kernelILi16ELi64EifEEv21rocsparse_index_base_T1_S2_S2_PKT2_PKS2_PS3_l16rocsparse_order_
; %bb.0:
	s_load_b128 s[12:15], s[0:1], 0x0
	s_bfe_u32 s2, ttmp6, 0x4000c
	s_and_b32 s3, ttmp6, 15
	s_add_co_i32 s2, s2, 1
	s_getreg_b32 s4, hwreg(HW_REG_IB_STS2, 6, 4)
	s_mul_i32 s2, ttmp9, s2
	v_lshrrev_b32_e32 v1, 6, v0
	s_add_co_i32 s3, s3, s2
	s_cmp_eq_u32 s4, 0
	s_cselect_b32 s2, ttmp9, s3
	s_delay_alu instid0(VALU_DEP_1) | instid1(SALU_CYCLE_1)
	v_lshl_or_b32 v1, s2, 4, v1
	s_mov_b32 s2, exec_lo
	s_wait_kmcnt 0x0
	s_delay_alu instid0(VALU_DEP_1)
	v_cmpx_gt_u32_e64 s15, v1
	s_cbranch_execz .LBB3_6
; %bb.1:
	v_and_b32_e32 v2, 63, v0
	s_delay_alu instid0(VALU_DEP_1)
	v_cmp_gt_i32_e32 vcc_lo, s13, v2
	s_and_b32 exec_lo, exec_lo, vcc_lo
	s_cbranch_execz .LBB3_6
; %bb.2:
	s_clause 0x1
	s_load_b32 s2, s[0:1], 0x30
	s_load_b256 s[4:11], s[0:1], 0x10
	v_mul_lo_u32 v3, s13, v1
	v_mov_b32_e32 v1, 0
	s_wait_kmcnt 0x0
	s_cmp_eq_u32 s2, 1
	s_mov_b32 s2, 0
	s_cselect_b32 vcc_lo, -1, 0
	s_branch .LBB3_4
.LBB3_3:                                ;   in Loop: Header=BB3_4 Depth=1
	s_wait_xcnt 0x0
	s_or_b32 exec_lo, exec_lo, s0
	v_add_nc_u32_e32 v2, 64, v2
	s_delay_alu instid0(VALU_DEP_1) | instskip(SKIP_1) | instid1(SALU_CYCLE_1)
	v_cmp_le_i32_e64 s0, s13, v2
	s_or_b32 s2, s0, s2
	s_and_not1_b32 exec_lo, exec_lo, s2
	s_cbranch_execz .LBB3_6
.LBB3_4:                                ; =>This Inner Loop Header: Depth=1
	s_delay_alu instid0(VALU_DEP_2) | instskip(SKIP_3) | instid1(VALU_DEP_1)
	v_add_nc_u32_e32 v0, v3, v2
	global_load_b32 v4, v0, s[6:7] scale_offset
	s_wait_loadcnt 0x0
	v_subrev_nc_u32_e32 v4, s12, v4
	v_cmp_lt_i32_e64 s0, -1, v4
	v_cmp_gt_i32_e64 s1, s14, v4
	s_and_b32 s1, s0, s1
	s_wait_xcnt 0x0
	s_and_saveexec_b32 s0, s1
	s_cbranch_execz .LBB3_3
; %bb.5:                                ;   in Loop: Header=BB3_4 Depth=1
	v_lshl_add_u64 v[6:7], v[0:1], 2, s[4:5]
	v_dual_cndmask_b32 v0, v2, v4, vcc_lo :: v_dual_cndmask_b32 v4, v4, v2, vcc_lo
	v_mov_b32_e32 v5, v1
	global_load_b32 v8, v[6:7], off
	s_wait_xcnt 0x0
	v_mul_u64_e32 v[6:7], s[10:11], v[0:1]
	s_delay_alu instid0(VALU_DEP_1) | instskip(NEXT) | instid1(VALU_DEP_1)
	v_lshl_add_u64 v[6:7], v[6:7], 2, s[8:9]
	v_lshl_add_u64 v[4:5], v[4:5], 2, v[6:7]
	s_wait_loadcnt 0x0
	global_store_b32 v[4:5], v8, off
	s_branch .LBB3_3
.LBB3_6:
	s_endpgm
	.section	.rodata,"a",@progbits
	.p2align	6, 0x0
	.amdhsa_kernel _ZN9rocsparseL16ell2dense_kernelILi16ELi64EifEEv21rocsparse_index_base_T1_S2_S2_PKT2_PKS2_PS3_l16rocsparse_order_
		.amdhsa_group_segment_fixed_size 0
		.amdhsa_private_segment_fixed_size 0
		.amdhsa_kernarg_size 52
		.amdhsa_user_sgpr_count 2
		.amdhsa_user_sgpr_dispatch_ptr 0
		.amdhsa_user_sgpr_queue_ptr 0
		.amdhsa_user_sgpr_kernarg_segment_ptr 1
		.amdhsa_user_sgpr_dispatch_id 0
		.amdhsa_user_sgpr_kernarg_preload_length 0
		.amdhsa_user_sgpr_kernarg_preload_offset 0
		.amdhsa_user_sgpr_private_segment_size 0
		.amdhsa_wavefront_size32 1
		.amdhsa_uses_dynamic_stack 0
		.amdhsa_enable_private_segment 0
		.amdhsa_system_sgpr_workgroup_id_x 1
		.amdhsa_system_sgpr_workgroup_id_y 0
		.amdhsa_system_sgpr_workgroup_id_z 0
		.amdhsa_system_sgpr_workgroup_info 0
		.amdhsa_system_vgpr_workitem_id 0
		.amdhsa_next_free_vgpr 9
		.amdhsa_next_free_sgpr 16
		.amdhsa_named_barrier_count 0
		.amdhsa_reserve_vcc 1
		.amdhsa_float_round_mode_32 0
		.amdhsa_float_round_mode_16_64 0
		.amdhsa_float_denorm_mode_32 3
		.amdhsa_float_denorm_mode_16_64 3
		.amdhsa_fp16_overflow 0
		.amdhsa_memory_ordered 1
		.amdhsa_forward_progress 1
		.amdhsa_inst_pref_size 3
		.amdhsa_round_robin_scheduling 0
		.amdhsa_exception_fp_ieee_invalid_op 0
		.amdhsa_exception_fp_denorm_src 0
		.amdhsa_exception_fp_ieee_div_zero 0
		.amdhsa_exception_fp_ieee_overflow 0
		.amdhsa_exception_fp_ieee_underflow 0
		.amdhsa_exception_fp_ieee_inexact 0
		.amdhsa_exception_int_div_zero 0
	.end_amdhsa_kernel
	.section	.text._ZN9rocsparseL16ell2dense_kernelILi16ELi64EifEEv21rocsparse_index_base_T1_S2_S2_PKT2_PKS2_PS3_l16rocsparse_order_,"axG",@progbits,_ZN9rocsparseL16ell2dense_kernelILi16ELi64EifEEv21rocsparse_index_base_T1_S2_S2_PKT2_PKS2_PS3_l16rocsparse_order_,comdat
.Lfunc_end3:
	.size	_ZN9rocsparseL16ell2dense_kernelILi16ELi64EifEEv21rocsparse_index_base_T1_S2_S2_PKT2_PKS2_PS3_l16rocsparse_order_, .Lfunc_end3-_ZN9rocsparseL16ell2dense_kernelILi16ELi64EifEEv21rocsparse_index_base_T1_S2_S2_PKT2_PKS2_PS3_l16rocsparse_order_
                                        ; -- End function
	.set _ZN9rocsparseL16ell2dense_kernelILi16ELi64EifEEv21rocsparse_index_base_T1_S2_S2_PKT2_PKS2_PS3_l16rocsparse_order_.num_vgpr, 9
	.set _ZN9rocsparseL16ell2dense_kernelILi16ELi64EifEEv21rocsparse_index_base_T1_S2_S2_PKT2_PKS2_PS3_l16rocsparse_order_.num_agpr, 0
	.set _ZN9rocsparseL16ell2dense_kernelILi16ELi64EifEEv21rocsparse_index_base_T1_S2_S2_PKT2_PKS2_PS3_l16rocsparse_order_.numbered_sgpr, 16
	.set _ZN9rocsparseL16ell2dense_kernelILi16ELi64EifEEv21rocsparse_index_base_T1_S2_S2_PKT2_PKS2_PS3_l16rocsparse_order_.num_named_barrier, 0
	.set _ZN9rocsparseL16ell2dense_kernelILi16ELi64EifEEv21rocsparse_index_base_T1_S2_S2_PKT2_PKS2_PS3_l16rocsparse_order_.private_seg_size, 0
	.set _ZN9rocsparseL16ell2dense_kernelILi16ELi64EifEEv21rocsparse_index_base_T1_S2_S2_PKT2_PKS2_PS3_l16rocsparse_order_.uses_vcc, 1
	.set _ZN9rocsparseL16ell2dense_kernelILi16ELi64EifEEv21rocsparse_index_base_T1_S2_S2_PKT2_PKS2_PS3_l16rocsparse_order_.uses_flat_scratch, 0
	.set _ZN9rocsparseL16ell2dense_kernelILi16ELi64EifEEv21rocsparse_index_base_T1_S2_S2_PKT2_PKS2_PS3_l16rocsparse_order_.has_dyn_sized_stack, 0
	.set _ZN9rocsparseL16ell2dense_kernelILi16ELi64EifEEv21rocsparse_index_base_T1_S2_S2_PKT2_PKS2_PS3_l16rocsparse_order_.has_recursion, 0
	.set _ZN9rocsparseL16ell2dense_kernelILi16ELi64EifEEv21rocsparse_index_base_T1_S2_S2_PKT2_PKS2_PS3_l16rocsparse_order_.has_indirect_call, 0
	.section	.AMDGPU.csdata,"",@progbits
; Kernel info:
; codeLenInByte = 340
; TotalNumSgprs: 18
; NumVgprs: 9
; ScratchSize: 0
; MemoryBound: 0
; FloatMode: 240
; IeeeMode: 1
; LDSByteSize: 0 bytes/workgroup (compile time only)
; SGPRBlocks: 0
; VGPRBlocks: 0
; NumSGPRsForWavesPerEU: 18
; NumVGPRsForWavesPerEU: 9
; NamedBarCnt: 0
; Occupancy: 16
; WaveLimiterHint : 1
; COMPUTE_PGM_RSRC2:SCRATCH_EN: 0
; COMPUTE_PGM_RSRC2:USER_SGPR: 2
; COMPUTE_PGM_RSRC2:TRAP_HANDLER: 0
; COMPUTE_PGM_RSRC2:TGID_X_EN: 1
; COMPUTE_PGM_RSRC2:TGID_Y_EN: 0
; COMPUTE_PGM_RSRC2:TGID_Z_EN: 0
; COMPUTE_PGM_RSRC2:TIDIG_COMP_CNT: 0
	.section	.text._ZN9rocsparseL16ell2dense_kernelILi16ELi32EidEEv21rocsparse_index_base_T1_S2_S2_PKT2_PKS2_PS3_l16rocsparse_order_,"axG",@progbits,_ZN9rocsparseL16ell2dense_kernelILi16ELi32EidEEv21rocsparse_index_base_T1_S2_S2_PKT2_PKS2_PS3_l16rocsparse_order_,comdat
	.globl	_ZN9rocsparseL16ell2dense_kernelILi16ELi32EidEEv21rocsparse_index_base_T1_S2_S2_PKT2_PKS2_PS3_l16rocsparse_order_ ; -- Begin function _ZN9rocsparseL16ell2dense_kernelILi16ELi32EidEEv21rocsparse_index_base_T1_S2_S2_PKT2_PKS2_PS3_l16rocsparse_order_
	.p2align	8
	.type	_ZN9rocsparseL16ell2dense_kernelILi16ELi32EidEEv21rocsparse_index_base_T1_S2_S2_PKT2_PKS2_PS3_l16rocsparse_order_,@function
_ZN9rocsparseL16ell2dense_kernelILi16ELi32EidEEv21rocsparse_index_base_T1_S2_S2_PKT2_PKS2_PS3_l16rocsparse_order_: ; @_ZN9rocsparseL16ell2dense_kernelILi16ELi32EidEEv21rocsparse_index_base_T1_S2_S2_PKT2_PKS2_PS3_l16rocsparse_order_
; %bb.0:
	s_load_b128 s[12:15], s[0:1], 0x0
	s_bfe_u32 s2, ttmp6, 0x4000c
	s_and_b32 s3, ttmp6, 15
	s_add_co_i32 s2, s2, 1
	s_getreg_b32 s4, hwreg(HW_REG_IB_STS2, 6, 4)
	s_mul_i32 s2, ttmp9, s2
	v_lshrrev_b32_e32 v1, 5, v0
	s_add_co_i32 s3, s3, s2
	s_cmp_eq_u32 s4, 0
	s_cselect_b32 s2, ttmp9, s3
	s_delay_alu instid0(VALU_DEP_1) | instid1(SALU_CYCLE_1)
	v_lshl_or_b32 v1, s2, 4, v1
	s_mov_b32 s2, exec_lo
	s_wait_kmcnt 0x0
	s_delay_alu instid0(VALU_DEP_1)
	v_cmpx_gt_u32_e64 s15, v1
	s_cbranch_execz .LBB4_6
; %bb.1:
	v_and_b32_e32 v2, 31, v0
	s_delay_alu instid0(VALU_DEP_1)
	v_cmp_gt_i32_e32 vcc_lo, s13, v2
	s_and_b32 exec_lo, exec_lo, vcc_lo
	s_cbranch_execz .LBB4_6
; %bb.2:
	s_clause 0x1
	s_load_b32 s2, s[0:1], 0x30
	s_load_b256 s[4:11], s[0:1], 0x10
	v_mul_lo_u32 v3, s13, v1
	v_mov_b32_e32 v1, 0
	s_wait_kmcnt 0x0
	s_cmp_eq_u32 s2, 1
	s_mov_b32 s2, 0
	s_cselect_b32 vcc_lo, -1, 0
	s_branch .LBB4_4
.LBB4_3:                                ;   in Loop: Header=BB4_4 Depth=1
	s_wait_xcnt 0x0
	s_or_b32 exec_lo, exec_lo, s0
	v_add_nc_u32_e32 v2, 32, v2
	s_delay_alu instid0(VALU_DEP_1) | instskip(SKIP_1) | instid1(SALU_CYCLE_1)
	v_cmp_le_i32_e64 s0, s13, v2
	s_or_b32 s2, s0, s2
	s_and_not1_b32 exec_lo, exec_lo, s2
	s_cbranch_execz .LBB4_6
.LBB4_4:                                ; =>This Inner Loop Header: Depth=1
	s_delay_alu instid0(VALU_DEP_2) | instskip(SKIP_3) | instid1(VALU_DEP_1)
	v_add_nc_u32_e32 v0, v3, v2
	global_load_b32 v4, v0, s[6:7] scale_offset
	s_wait_loadcnt 0x0
	v_subrev_nc_u32_e32 v4, s12, v4
	v_cmp_lt_i32_e64 s0, -1, v4
	v_cmp_gt_i32_e64 s1, s14, v4
	s_and_b32 s1, s0, s1
	s_wait_xcnt 0x0
	s_and_saveexec_b32 s0, s1
	s_cbranch_execz .LBB4_3
; %bb.5:                                ;   in Loop: Header=BB4_4 Depth=1
	v_lshl_add_u64 v[6:7], v[0:1], 3, s[4:5]
	v_dual_cndmask_b32 v0, v2, v4, vcc_lo :: v_dual_cndmask_b32 v4, v4, v2, vcc_lo
	v_mov_b32_e32 v5, v1
	global_load_b64 v[6:7], v[6:7], off
	v_mul_u64_e32 v[8:9], s[10:11], v[0:1]
	s_delay_alu instid0(VALU_DEP_1) | instskip(NEXT) | instid1(VALU_DEP_1)
	v_lshl_add_u64 v[8:9], v[8:9], 3, s[8:9]
	v_lshl_add_u64 v[4:5], v[4:5], 3, v[8:9]
	s_wait_loadcnt 0x0
	global_store_b64 v[4:5], v[6:7], off
	s_branch .LBB4_3
.LBB4_6:
	s_endpgm
	.section	.rodata,"a",@progbits
	.p2align	6, 0x0
	.amdhsa_kernel _ZN9rocsparseL16ell2dense_kernelILi16ELi32EidEEv21rocsparse_index_base_T1_S2_S2_PKT2_PKS2_PS3_l16rocsparse_order_
		.amdhsa_group_segment_fixed_size 0
		.amdhsa_private_segment_fixed_size 0
		.amdhsa_kernarg_size 52
		.amdhsa_user_sgpr_count 2
		.amdhsa_user_sgpr_dispatch_ptr 0
		.amdhsa_user_sgpr_queue_ptr 0
		.amdhsa_user_sgpr_kernarg_segment_ptr 1
		.amdhsa_user_sgpr_dispatch_id 0
		.amdhsa_user_sgpr_kernarg_preload_length 0
		.amdhsa_user_sgpr_kernarg_preload_offset 0
		.amdhsa_user_sgpr_private_segment_size 0
		.amdhsa_wavefront_size32 1
		.amdhsa_uses_dynamic_stack 0
		.amdhsa_enable_private_segment 0
		.amdhsa_system_sgpr_workgroup_id_x 1
		.amdhsa_system_sgpr_workgroup_id_y 0
		.amdhsa_system_sgpr_workgroup_id_z 0
		.amdhsa_system_sgpr_workgroup_info 0
		.amdhsa_system_vgpr_workitem_id 0
		.amdhsa_next_free_vgpr 10
		.amdhsa_next_free_sgpr 16
		.amdhsa_named_barrier_count 0
		.amdhsa_reserve_vcc 1
		.amdhsa_float_round_mode_32 0
		.amdhsa_float_round_mode_16_64 0
		.amdhsa_float_denorm_mode_32 3
		.amdhsa_float_denorm_mode_16_64 3
		.amdhsa_fp16_overflow 0
		.amdhsa_memory_ordered 1
		.amdhsa_forward_progress 1
		.amdhsa_inst_pref_size 3
		.amdhsa_round_robin_scheduling 0
		.amdhsa_exception_fp_ieee_invalid_op 0
		.amdhsa_exception_fp_denorm_src 0
		.amdhsa_exception_fp_ieee_div_zero 0
		.amdhsa_exception_fp_ieee_overflow 0
		.amdhsa_exception_fp_ieee_underflow 0
		.amdhsa_exception_fp_ieee_inexact 0
		.amdhsa_exception_int_div_zero 0
	.end_amdhsa_kernel
	.section	.text._ZN9rocsparseL16ell2dense_kernelILi16ELi32EidEEv21rocsparse_index_base_T1_S2_S2_PKT2_PKS2_PS3_l16rocsparse_order_,"axG",@progbits,_ZN9rocsparseL16ell2dense_kernelILi16ELi32EidEEv21rocsparse_index_base_T1_S2_S2_PKT2_PKS2_PS3_l16rocsparse_order_,comdat
.Lfunc_end4:
	.size	_ZN9rocsparseL16ell2dense_kernelILi16ELi32EidEEv21rocsparse_index_base_T1_S2_S2_PKT2_PKS2_PS3_l16rocsparse_order_, .Lfunc_end4-_ZN9rocsparseL16ell2dense_kernelILi16ELi32EidEEv21rocsparse_index_base_T1_S2_S2_PKT2_PKS2_PS3_l16rocsparse_order_
                                        ; -- End function
	.set _ZN9rocsparseL16ell2dense_kernelILi16ELi32EidEEv21rocsparse_index_base_T1_S2_S2_PKT2_PKS2_PS3_l16rocsparse_order_.num_vgpr, 10
	.set _ZN9rocsparseL16ell2dense_kernelILi16ELi32EidEEv21rocsparse_index_base_T1_S2_S2_PKT2_PKS2_PS3_l16rocsparse_order_.num_agpr, 0
	.set _ZN9rocsparseL16ell2dense_kernelILi16ELi32EidEEv21rocsparse_index_base_T1_S2_S2_PKT2_PKS2_PS3_l16rocsparse_order_.numbered_sgpr, 16
	.set _ZN9rocsparseL16ell2dense_kernelILi16ELi32EidEEv21rocsparse_index_base_T1_S2_S2_PKT2_PKS2_PS3_l16rocsparse_order_.num_named_barrier, 0
	.set _ZN9rocsparseL16ell2dense_kernelILi16ELi32EidEEv21rocsparse_index_base_T1_S2_S2_PKT2_PKS2_PS3_l16rocsparse_order_.private_seg_size, 0
	.set _ZN9rocsparseL16ell2dense_kernelILi16ELi32EidEEv21rocsparse_index_base_T1_S2_S2_PKT2_PKS2_PS3_l16rocsparse_order_.uses_vcc, 1
	.set _ZN9rocsparseL16ell2dense_kernelILi16ELi32EidEEv21rocsparse_index_base_T1_S2_S2_PKT2_PKS2_PS3_l16rocsparse_order_.uses_flat_scratch, 0
	.set _ZN9rocsparseL16ell2dense_kernelILi16ELi32EidEEv21rocsparse_index_base_T1_S2_S2_PKT2_PKS2_PS3_l16rocsparse_order_.has_dyn_sized_stack, 0
	.set _ZN9rocsparseL16ell2dense_kernelILi16ELi32EidEEv21rocsparse_index_base_T1_S2_S2_PKT2_PKS2_PS3_l16rocsparse_order_.has_recursion, 0
	.set _ZN9rocsparseL16ell2dense_kernelILi16ELi32EidEEv21rocsparse_index_base_T1_S2_S2_PKT2_PKS2_PS3_l16rocsparse_order_.has_indirect_call, 0
	.section	.AMDGPU.csdata,"",@progbits
; Kernel info:
; codeLenInByte = 336
; TotalNumSgprs: 18
; NumVgprs: 10
; ScratchSize: 0
; MemoryBound: 0
; FloatMode: 240
; IeeeMode: 1
; LDSByteSize: 0 bytes/workgroup (compile time only)
; SGPRBlocks: 0
; VGPRBlocks: 0
; NumSGPRsForWavesPerEU: 18
; NumVGPRsForWavesPerEU: 10
; NamedBarCnt: 0
; Occupancy: 16
; WaveLimiterHint : 1
; COMPUTE_PGM_RSRC2:SCRATCH_EN: 0
; COMPUTE_PGM_RSRC2:USER_SGPR: 2
; COMPUTE_PGM_RSRC2:TRAP_HANDLER: 0
; COMPUTE_PGM_RSRC2:TGID_X_EN: 1
; COMPUTE_PGM_RSRC2:TGID_Y_EN: 0
; COMPUTE_PGM_RSRC2:TGID_Z_EN: 0
; COMPUTE_PGM_RSRC2:TIDIG_COMP_CNT: 0
	.section	.text._ZN9rocsparseL16ell2dense_kernelILi16ELi64EidEEv21rocsparse_index_base_T1_S2_S2_PKT2_PKS2_PS3_l16rocsparse_order_,"axG",@progbits,_ZN9rocsparseL16ell2dense_kernelILi16ELi64EidEEv21rocsparse_index_base_T1_S2_S2_PKT2_PKS2_PS3_l16rocsparse_order_,comdat
	.globl	_ZN9rocsparseL16ell2dense_kernelILi16ELi64EidEEv21rocsparse_index_base_T1_S2_S2_PKT2_PKS2_PS3_l16rocsparse_order_ ; -- Begin function _ZN9rocsparseL16ell2dense_kernelILi16ELi64EidEEv21rocsparse_index_base_T1_S2_S2_PKT2_PKS2_PS3_l16rocsparse_order_
	.p2align	8
	.type	_ZN9rocsparseL16ell2dense_kernelILi16ELi64EidEEv21rocsparse_index_base_T1_S2_S2_PKT2_PKS2_PS3_l16rocsparse_order_,@function
_ZN9rocsparseL16ell2dense_kernelILi16ELi64EidEEv21rocsparse_index_base_T1_S2_S2_PKT2_PKS2_PS3_l16rocsparse_order_: ; @_ZN9rocsparseL16ell2dense_kernelILi16ELi64EidEEv21rocsparse_index_base_T1_S2_S2_PKT2_PKS2_PS3_l16rocsparse_order_
; %bb.0:
	s_load_b128 s[12:15], s[0:1], 0x0
	s_bfe_u32 s2, ttmp6, 0x4000c
	s_and_b32 s3, ttmp6, 15
	s_add_co_i32 s2, s2, 1
	s_getreg_b32 s4, hwreg(HW_REG_IB_STS2, 6, 4)
	s_mul_i32 s2, ttmp9, s2
	v_lshrrev_b32_e32 v1, 6, v0
	s_add_co_i32 s3, s3, s2
	s_cmp_eq_u32 s4, 0
	s_cselect_b32 s2, ttmp9, s3
	s_delay_alu instid0(VALU_DEP_1) | instid1(SALU_CYCLE_1)
	v_lshl_or_b32 v1, s2, 4, v1
	s_mov_b32 s2, exec_lo
	s_wait_kmcnt 0x0
	s_delay_alu instid0(VALU_DEP_1)
	v_cmpx_gt_u32_e64 s15, v1
	s_cbranch_execz .LBB5_6
; %bb.1:
	v_and_b32_e32 v2, 63, v0
	s_delay_alu instid0(VALU_DEP_1)
	v_cmp_gt_i32_e32 vcc_lo, s13, v2
	s_and_b32 exec_lo, exec_lo, vcc_lo
	s_cbranch_execz .LBB5_6
; %bb.2:
	s_clause 0x1
	s_load_b32 s2, s[0:1], 0x30
	s_load_b256 s[4:11], s[0:1], 0x10
	v_mul_lo_u32 v3, s13, v1
	v_mov_b32_e32 v1, 0
	s_wait_kmcnt 0x0
	s_cmp_eq_u32 s2, 1
	s_mov_b32 s2, 0
	s_cselect_b32 vcc_lo, -1, 0
	s_branch .LBB5_4
.LBB5_3:                                ;   in Loop: Header=BB5_4 Depth=1
	s_wait_xcnt 0x0
	s_or_b32 exec_lo, exec_lo, s0
	v_add_nc_u32_e32 v2, 64, v2
	s_delay_alu instid0(VALU_DEP_1) | instskip(SKIP_1) | instid1(SALU_CYCLE_1)
	v_cmp_le_i32_e64 s0, s13, v2
	s_or_b32 s2, s0, s2
	s_and_not1_b32 exec_lo, exec_lo, s2
	s_cbranch_execz .LBB5_6
.LBB5_4:                                ; =>This Inner Loop Header: Depth=1
	s_delay_alu instid0(VALU_DEP_2) | instskip(SKIP_3) | instid1(VALU_DEP_1)
	v_add_nc_u32_e32 v0, v3, v2
	global_load_b32 v4, v0, s[6:7] scale_offset
	s_wait_loadcnt 0x0
	v_subrev_nc_u32_e32 v4, s12, v4
	v_cmp_lt_i32_e64 s0, -1, v4
	v_cmp_gt_i32_e64 s1, s14, v4
	s_and_b32 s1, s0, s1
	s_wait_xcnt 0x0
	s_and_saveexec_b32 s0, s1
	s_cbranch_execz .LBB5_3
; %bb.5:                                ;   in Loop: Header=BB5_4 Depth=1
	v_lshl_add_u64 v[6:7], v[0:1], 3, s[4:5]
	v_dual_cndmask_b32 v0, v2, v4, vcc_lo :: v_dual_cndmask_b32 v4, v4, v2, vcc_lo
	v_mov_b32_e32 v5, v1
	global_load_b64 v[6:7], v[6:7], off
	v_mul_u64_e32 v[8:9], s[10:11], v[0:1]
	s_delay_alu instid0(VALU_DEP_1) | instskip(NEXT) | instid1(VALU_DEP_1)
	v_lshl_add_u64 v[8:9], v[8:9], 3, s[8:9]
	v_lshl_add_u64 v[4:5], v[4:5], 3, v[8:9]
	s_wait_loadcnt 0x0
	global_store_b64 v[4:5], v[6:7], off
	s_branch .LBB5_3
.LBB5_6:
	s_endpgm
	.section	.rodata,"a",@progbits
	.p2align	6, 0x0
	.amdhsa_kernel _ZN9rocsparseL16ell2dense_kernelILi16ELi64EidEEv21rocsparse_index_base_T1_S2_S2_PKT2_PKS2_PS3_l16rocsparse_order_
		.amdhsa_group_segment_fixed_size 0
		.amdhsa_private_segment_fixed_size 0
		.amdhsa_kernarg_size 52
		.amdhsa_user_sgpr_count 2
		.amdhsa_user_sgpr_dispatch_ptr 0
		.amdhsa_user_sgpr_queue_ptr 0
		.amdhsa_user_sgpr_kernarg_segment_ptr 1
		.amdhsa_user_sgpr_dispatch_id 0
		.amdhsa_user_sgpr_kernarg_preload_length 0
		.amdhsa_user_sgpr_kernarg_preload_offset 0
		.amdhsa_user_sgpr_private_segment_size 0
		.amdhsa_wavefront_size32 1
		.amdhsa_uses_dynamic_stack 0
		.amdhsa_enable_private_segment 0
		.amdhsa_system_sgpr_workgroup_id_x 1
		.amdhsa_system_sgpr_workgroup_id_y 0
		.amdhsa_system_sgpr_workgroup_id_z 0
		.amdhsa_system_sgpr_workgroup_info 0
		.amdhsa_system_vgpr_workitem_id 0
		.amdhsa_next_free_vgpr 10
		.amdhsa_next_free_sgpr 16
		.amdhsa_named_barrier_count 0
		.amdhsa_reserve_vcc 1
		.amdhsa_float_round_mode_32 0
		.amdhsa_float_round_mode_16_64 0
		.amdhsa_float_denorm_mode_32 3
		.amdhsa_float_denorm_mode_16_64 3
		.amdhsa_fp16_overflow 0
		.amdhsa_memory_ordered 1
		.amdhsa_forward_progress 1
		.amdhsa_inst_pref_size 3
		.amdhsa_round_robin_scheduling 0
		.amdhsa_exception_fp_ieee_invalid_op 0
		.amdhsa_exception_fp_denorm_src 0
		.amdhsa_exception_fp_ieee_div_zero 0
		.amdhsa_exception_fp_ieee_overflow 0
		.amdhsa_exception_fp_ieee_underflow 0
		.amdhsa_exception_fp_ieee_inexact 0
		.amdhsa_exception_int_div_zero 0
	.end_amdhsa_kernel
	.section	.text._ZN9rocsparseL16ell2dense_kernelILi16ELi64EidEEv21rocsparse_index_base_T1_S2_S2_PKT2_PKS2_PS3_l16rocsparse_order_,"axG",@progbits,_ZN9rocsparseL16ell2dense_kernelILi16ELi64EidEEv21rocsparse_index_base_T1_S2_S2_PKT2_PKS2_PS3_l16rocsparse_order_,comdat
.Lfunc_end5:
	.size	_ZN9rocsparseL16ell2dense_kernelILi16ELi64EidEEv21rocsparse_index_base_T1_S2_S2_PKT2_PKS2_PS3_l16rocsparse_order_, .Lfunc_end5-_ZN9rocsparseL16ell2dense_kernelILi16ELi64EidEEv21rocsparse_index_base_T1_S2_S2_PKT2_PKS2_PS3_l16rocsparse_order_
                                        ; -- End function
	.set _ZN9rocsparseL16ell2dense_kernelILi16ELi64EidEEv21rocsparse_index_base_T1_S2_S2_PKT2_PKS2_PS3_l16rocsparse_order_.num_vgpr, 10
	.set _ZN9rocsparseL16ell2dense_kernelILi16ELi64EidEEv21rocsparse_index_base_T1_S2_S2_PKT2_PKS2_PS3_l16rocsparse_order_.num_agpr, 0
	.set _ZN9rocsparseL16ell2dense_kernelILi16ELi64EidEEv21rocsparse_index_base_T1_S2_S2_PKT2_PKS2_PS3_l16rocsparse_order_.numbered_sgpr, 16
	.set _ZN9rocsparseL16ell2dense_kernelILi16ELi64EidEEv21rocsparse_index_base_T1_S2_S2_PKT2_PKS2_PS3_l16rocsparse_order_.num_named_barrier, 0
	.set _ZN9rocsparseL16ell2dense_kernelILi16ELi64EidEEv21rocsparse_index_base_T1_S2_S2_PKT2_PKS2_PS3_l16rocsparse_order_.private_seg_size, 0
	.set _ZN9rocsparseL16ell2dense_kernelILi16ELi64EidEEv21rocsparse_index_base_T1_S2_S2_PKT2_PKS2_PS3_l16rocsparse_order_.uses_vcc, 1
	.set _ZN9rocsparseL16ell2dense_kernelILi16ELi64EidEEv21rocsparse_index_base_T1_S2_S2_PKT2_PKS2_PS3_l16rocsparse_order_.uses_flat_scratch, 0
	.set _ZN9rocsparseL16ell2dense_kernelILi16ELi64EidEEv21rocsparse_index_base_T1_S2_S2_PKT2_PKS2_PS3_l16rocsparse_order_.has_dyn_sized_stack, 0
	.set _ZN9rocsparseL16ell2dense_kernelILi16ELi64EidEEv21rocsparse_index_base_T1_S2_S2_PKT2_PKS2_PS3_l16rocsparse_order_.has_recursion, 0
	.set _ZN9rocsparseL16ell2dense_kernelILi16ELi64EidEEv21rocsparse_index_base_T1_S2_S2_PKT2_PKS2_PS3_l16rocsparse_order_.has_indirect_call, 0
	.section	.AMDGPU.csdata,"",@progbits
; Kernel info:
; codeLenInByte = 336
; TotalNumSgprs: 18
; NumVgprs: 10
; ScratchSize: 0
; MemoryBound: 0
; FloatMode: 240
; IeeeMode: 1
; LDSByteSize: 0 bytes/workgroup (compile time only)
; SGPRBlocks: 0
; VGPRBlocks: 0
; NumSGPRsForWavesPerEU: 18
; NumVGPRsForWavesPerEU: 10
; NamedBarCnt: 0
; Occupancy: 16
; WaveLimiterHint : 1
; COMPUTE_PGM_RSRC2:SCRATCH_EN: 0
; COMPUTE_PGM_RSRC2:USER_SGPR: 2
; COMPUTE_PGM_RSRC2:TRAP_HANDLER: 0
; COMPUTE_PGM_RSRC2:TGID_X_EN: 1
; COMPUTE_PGM_RSRC2:TGID_Y_EN: 0
; COMPUTE_PGM_RSRC2:TGID_Z_EN: 0
; COMPUTE_PGM_RSRC2:TIDIG_COMP_CNT: 0
	.section	.text._ZN9rocsparseL16ell2dense_kernelILi16ELi32Ei21rocsparse_complex_numIfEEEv21rocsparse_index_base_T1_S4_S4_PKT2_PKS4_PS5_l16rocsparse_order_,"axG",@progbits,_ZN9rocsparseL16ell2dense_kernelILi16ELi32Ei21rocsparse_complex_numIfEEEv21rocsparse_index_base_T1_S4_S4_PKT2_PKS4_PS5_l16rocsparse_order_,comdat
	.globl	_ZN9rocsparseL16ell2dense_kernelILi16ELi32Ei21rocsparse_complex_numIfEEEv21rocsparse_index_base_T1_S4_S4_PKT2_PKS4_PS5_l16rocsparse_order_ ; -- Begin function _ZN9rocsparseL16ell2dense_kernelILi16ELi32Ei21rocsparse_complex_numIfEEEv21rocsparse_index_base_T1_S4_S4_PKT2_PKS4_PS5_l16rocsparse_order_
	.p2align	8
	.type	_ZN9rocsparseL16ell2dense_kernelILi16ELi32Ei21rocsparse_complex_numIfEEEv21rocsparse_index_base_T1_S4_S4_PKT2_PKS4_PS5_l16rocsparse_order_,@function
_ZN9rocsparseL16ell2dense_kernelILi16ELi32Ei21rocsparse_complex_numIfEEEv21rocsparse_index_base_T1_S4_S4_PKT2_PKS4_PS5_l16rocsparse_order_: ; @_ZN9rocsparseL16ell2dense_kernelILi16ELi32Ei21rocsparse_complex_numIfEEEv21rocsparse_index_base_T1_S4_S4_PKT2_PKS4_PS5_l16rocsparse_order_
; %bb.0:
	s_load_b128 s[12:15], s[0:1], 0x0
	s_bfe_u32 s2, ttmp6, 0x4000c
	s_and_b32 s3, ttmp6, 15
	s_add_co_i32 s2, s2, 1
	s_getreg_b32 s4, hwreg(HW_REG_IB_STS2, 6, 4)
	s_mul_i32 s2, ttmp9, s2
	v_lshrrev_b32_e32 v1, 5, v0
	s_add_co_i32 s3, s3, s2
	s_cmp_eq_u32 s4, 0
	s_cselect_b32 s2, ttmp9, s3
	s_delay_alu instid0(VALU_DEP_1) | instid1(SALU_CYCLE_1)
	v_lshl_or_b32 v1, s2, 4, v1
	s_mov_b32 s2, exec_lo
	s_wait_kmcnt 0x0
	s_delay_alu instid0(VALU_DEP_1)
	v_cmpx_gt_u32_e64 s15, v1
	s_cbranch_execz .LBB6_6
; %bb.1:
	v_and_b32_e32 v2, 31, v0
	s_delay_alu instid0(VALU_DEP_1)
	v_cmp_gt_i32_e32 vcc_lo, s13, v2
	s_and_b32 exec_lo, exec_lo, vcc_lo
	s_cbranch_execz .LBB6_6
; %bb.2:
	s_clause 0x1
	s_load_b32 s2, s[0:1], 0x30
	s_load_b256 s[4:11], s[0:1], 0x10
	v_mul_lo_u32 v3, s13, v1
	v_mov_b32_e32 v1, 0
	s_wait_kmcnt 0x0
	s_cmp_eq_u32 s2, 1
	s_mov_b32 s2, 0
	s_cselect_b32 vcc_lo, -1, 0
	s_branch .LBB6_4
.LBB6_3:                                ;   in Loop: Header=BB6_4 Depth=1
	s_wait_xcnt 0x0
	s_or_b32 exec_lo, exec_lo, s0
	v_add_nc_u32_e32 v2, 32, v2
	s_delay_alu instid0(VALU_DEP_1) | instskip(SKIP_1) | instid1(SALU_CYCLE_1)
	v_cmp_le_i32_e64 s0, s13, v2
	s_or_b32 s2, s0, s2
	s_and_not1_b32 exec_lo, exec_lo, s2
	s_cbranch_execz .LBB6_6
.LBB6_4:                                ; =>This Inner Loop Header: Depth=1
	s_delay_alu instid0(VALU_DEP_2) | instskip(SKIP_3) | instid1(VALU_DEP_1)
	v_add_nc_u32_e32 v0, v3, v2
	global_load_b32 v4, v0, s[6:7] scale_offset
	s_wait_loadcnt 0x0
	v_subrev_nc_u32_e32 v4, s12, v4
	v_cmp_lt_i32_e64 s0, -1, v4
	v_cmp_gt_i32_e64 s1, s14, v4
	s_and_b32 s1, s0, s1
	s_wait_xcnt 0x0
	s_and_saveexec_b32 s0, s1
	s_cbranch_execz .LBB6_3
; %bb.5:                                ;   in Loop: Header=BB6_4 Depth=1
	v_lshl_add_u64 v[6:7], v[0:1], 3, s[4:5]
	v_dual_cndmask_b32 v0, v2, v4, vcc_lo :: v_dual_cndmask_b32 v4, v4, v2, vcc_lo
	v_mov_b32_e32 v5, v1
	global_load_b64 v[6:7], v[6:7], off
	v_mul_u64_e32 v[8:9], s[10:11], v[0:1]
	s_delay_alu instid0(VALU_DEP_1) | instskip(NEXT) | instid1(VALU_DEP_1)
	v_lshl_add_u64 v[8:9], v[8:9], 3, s[8:9]
	v_lshl_add_u64 v[4:5], v[4:5], 3, v[8:9]
	s_wait_loadcnt 0x0
	global_store_b64 v[4:5], v[6:7], off
	s_branch .LBB6_3
.LBB6_6:
	s_endpgm
	.section	.rodata,"a",@progbits
	.p2align	6, 0x0
	.amdhsa_kernel _ZN9rocsparseL16ell2dense_kernelILi16ELi32Ei21rocsparse_complex_numIfEEEv21rocsparse_index_base_T1_S4_S4_PKT2_PKS4_PS5_l16rocsparse_order_
		.amdhsa_group_segment_fixed_size 0
		.amdhsa_private_segment_fixed_size 0
		.amdhsa_kernarg_size 52
		.amdhsa_user_sgpr_count 2
		.amdhsa_user_sgpr_dispatch_ptr 0
		.amdhsa_user_sgpr_queue_ptr 0
		.amdhsa_user_sgpr_kernarg_segment_ptr 1
		.amdhsa_user_sgpr_dispatch_id 0
		.amdhsa_user_sgpr_kernarg_preload_length 0
		.amdhsa_user_sgpr_kernarg_preload_offset 0
		.amdhsa_user_sgpr_private_segment_size 0
		.amdhsa_wavefront_size32 1
		.amdhsa_uses_dynamic_stack 0
		.amdhsa_enable_private_segment 0
		.amdhsa_system_sgpr_workgroup_id_x 1
		.amdhsa_system_sgpr_workgroup_id_y 0
		.amdhsa_system_sgpr_workgroup_id_z 0
		.amdhsa_system_sgpr_workgroup_info 0
		.amdhsa_system_vgpr_workitem_id 0
		.amdhsa_next_free_vgpr 10
		.amdhsa_next_free_sgpr 16
		.amdhsa_named_barrier_count 0
		.amdhsa_reserve_vcc 1
		.amdhsa_float_round_mode_32 0
		.amdhsa_float_round_mode_16_64 0
		.amdhsa_float_denorm_mode_32 3
		.amdhsa_float_denorm_mode_16_64 3
		.amdhsa_fp16_overflow 0
		.amdhsa_memory_ordered 1
		.amdhsa_forward_progress 1
		.amdhsa_inst_pref_size 3
		.amdhsa_round_robin_scheduling 0
		.amdhsa_exception_fp_ieee_invalid_op 0
		.amdhsa_exception_fp_denorm_src 0
		.amdhsa_exception_fp_ieee_div_zero 0
		.amdhsa_exception_fp_ieee_overflow 0
		.amdhsa_exception_fp_ieee_underflow 0
		.amdhsa_exception_fp_ieee_inexact 0
		.amdhsa_exception_int_div_zero 0
	.end_amdhsa_kernel
	.section	.text._ZN9rocsparseL16ell2dense_kernelILi16ELi32Ei21rocsparse_complex_numIfEEEv21rocsparse_index_base_T1_S4_S4_PKT2_PKS4_PS5_l16rocsparse_order_,"axG",@progbits,_ZN9rocsparseL16ell2dense_kernelILi16ELi32Ei21rocsparse_complex_numIfEEEv21rocsparse_index_base_T1_S4_S4_PKT2_PKS4_PS5_l16rocsparse_order_,comdat
.Lfunc_end6:
	.size	_ZN9rocsparseL16ell2dense_kernelILi16ELi32Ei21rocsparse_complex_numIfEEEv21rocsparse_index_base_T1_S4_S4_PKT2_PKS4_PS5_l16rocsparse_order_, .Lfunc_end6-_ZN9rocsparseL16ell2dense_kernelILi16ELi32Ei21rocsparse_complex_numIfEEEv21rocsparse_index_base_T1_S4_S4_PKT2_PKS4_PS5_l16rocsparse_order_
                                        ; -- End function
	.set _ZN9rocsparseL16ell2dense_kernelILi16ELi32Ei21rocsparse_complex_numIfEEEv21rocsparse_index_base_T1_S4_S4_PKT2_PKS4_PS5_l16rocsparse_order_.num_vgpr, 10
	.set _ZN9rocsparseL16ell2dense_kernelILi16ELi32Ei21rocsparse_complex_numIfEEEv21rocsparse_index_base_T1_S4_S4_PKT2_PKS4_PS5_l16rocsparse_order_.num_agpr, 0
	.set _ZN9rocsparseL16ell2dense_kernelILi16ELi32Ei21rocsparse_complex_numIfEEEv21rocsparse_index_base_T1_S4_S4_PKT2_PKS4_PS5_l16rocsparse_order_.numbered_sgpr, 16
	.set _ZN9rocsparseL16ell2dense_kernelILi16ELi32Ei21rocsparse_complex_numIfEEEv21rocsparse_index_base_T1_S4_S4_PKT2_PKS4_PS5_l16rocsparse_order_.num_named_barrier, 0
	.set _ZN9rocsparseL16ell2dense_kernelILi16ELi32Ei21rocsparse_complex_numIfEEEv21rocsparse_index_base_T1_S4_S4_PKT2_PKS4_PS5_l16rocsparse_order_.private_seg_size, 0
	.set _ZN9rocsparseL16ell2dense_kernelILi16ELi32Ei21rocsparse_complex_numIfEEEv21rocsparse_index_base_T1_S4_S4_PKT2_PKS4_PS5_l16rocsparse_order_.uses_vcc, 1
	.set _ZN9rocsparseL16ell2dense_kernelILi16ELi32Ei21rocsparse_complex_numIfEEEv21rocsparse_index_base_T1_S4_S4_PKT2_PKS4_PS5_l16rocsparse_order_.uses_flat_scratch, 0
	.set _ZN9rocsparseL16ell2dense_kernelILi16ELi32Ei21rocsparse_complex_numIfEEEv21rocsparse_index_base_T1_S4_S4_PKT2_PKS4_PS5_l16rocsparse_order_.has_dyn_sized_stack, 0
	.set _ZN9rocsparseL16ell2dense_kernelILi16ELi32Ei21rocsparse_complex_numIfEEEv21rocsparse_index_base_T1_S4_S4_PKT2_PKS4_PS5_l16rocsparse_order_.has_recursion, 0
	.set _ZN9rocsparseL16ell2dense_kernelILi16ELi32Ei21rocsparse_complex_numIfEEEv21rocsparse_index_base_T1_S4_S4_PKT2_PKS4_PS5_l16rocsparse_order_.has_indirect_call, 0
	.section	.AMDGPU.csdata,"",@progbits
; Kernel info:
; codeLenInByte = 336
; TotalNumSgprs: 18
; NumVgprs: 10
; ScratchSize: 0
; MemoryBound: 0
; FloatMode: 240
; IeeeMode: 1
; LDSByteSize: 0 bytes/workgroup (compile time only)
; SGPRBlocks: 0
; VGPRBlocks: 0
; NumSGPRsForWavesPerEU: 18
; NumVGPRsForWavesPerEU: 10
; NamedBarCnt: 0
; Occupancy: 16
; WaveLimiterHint : 1
; COMPUTE_PGM_RSRC2:SCRATCH_EN: 0
; COMPUTE_PGM_RSRC2:USER_SGPR: 2
; COMPUTE_PGM_RSRC2:TRAP_HANDLER: 0
; COMPUTE_PGM_RSRC2:TGID_X_EN: 1
; COMPUTE_PGM_RSRC2:TGID_Y_EN: 0
; COMPUTE_PGM_RSRC2:TGID_Z_EN: 0
; COMPUTE_PGM_RSRC2:TIDIG_COMP_CNT: 0
	.section	.text._ZN9rocsparseL16ell2dense_kernelILi16ELi64Ei21rocsparse_complex_numIfEEEv21rocsparse_index_base_T1_S4_S4_PKT2_PKS4_PS5_l16rocsparse_order_,"axG",@progbits,_ZN9rocsparseL16ell2dense_kernelILi16ELi64Ei21rocsparse_complex_numIfEEEv21rocsparse_index_base_T1_S4_S4_PKT2_PKS4_PS5_l16rocsparse_order_,comdat
	.globl	_ZN9rocsparseL16ell2dense_kernelILi16ELi64Ei21rocsparse_complex_numIfEEEv21rocsparse_index_base_T1_S4_S4_PKT2_PKS4_PS5_l16rocsparse_order_ ; -- Begin function _ZN9rocsparseL16ell2dense_kernelILi16ELi64Ei21rocsparse_complex_numIfEEEv21rocsparse_index_base_T1_S4_S4_PKT2_PKS4_PS5_l16rocsparse_order_
	.p2align	8
	.type	_ZN9rocsparseL16ell2dense_kernelILi16ELi64Ei21rocsparse_complex_numIfEEEv21rocsparse_index_base_T1_S4_S4_PKT2_PKS4_PS5_l16rocsparse_order_,@function
_ZN9rocsparseL16ell2dense_kernelILi16ELi64Ei21rocsparse_complex_numIfEEEv21rocsparse_index_base_T1_S4_S4_PKT2_PKS4_PS5_l16rocsparse_order_: ; @_ZN9rocsparseL16ell2dense_kernelILi16ELi64Ei21rocsparse_complex_numIfEEEv21rocsparse_index_base_T1_S4_S4_PKT2_PKS4_PS5_l16rocsparse_order_
; %bb.0:
	s_load_b128 s[12:15], s[0:1], 0x0
	s_bfe_u32 s2, ttmp6, 0x4000c
	s_and_b32 s3, ttmp6, 15
	s_add_co_i32 s2, s2, 1
	s_getreg_b32 s4, hwreg(HW_REG_IB_STS2, 6, 4)
	s_mul_i32 s2, ttmp9, s2
	v_lshrrev_b32_e32 v1, 6, v0
	s_add_co_i32 s3, s3, s2
	s_cmp_eq_u32 s4, 0
	s_cselect_b32 s2, ttmp9, s3
	s_delay_alu instid0(VALU_DEP_1) | instid1(SALU_CYCLE_1)
	v_lshl_or_b32 v1, s2, 4, v1
	s_mov_b32 s2, exec_lo
	s_wait_kmcnt 0x0
	s_delay_alu instid0(VALU_DEP_1)
	v_cmpx_gt_u32_e64 s15, v1
	s_cbranch_execz .LBB7_6
; %bb.1:
	v_and_b32_e32 v2, 63, v0
	s_delay_alu instid0(VALU_DEP_1)
	v_cmp_gt_i32_e32 vcc_lo, s13, v2
	s_and_b32 exec_lo, exec_lo, vcc_lo
	s_cbranch_execz .LBB7_6
; %bb.2:
	s_clause 0x1
	s_load_b32 s2, s[0:1], 0x30
	s_load_b256 s[4:11], s[0:1], 0x10
	v_mul_lo_u32 v3, s13, v1
	v_mov_b32_e32 v1, 0
	s_wait_kmcnt 0x0
	s_cmp_eq_u32 s2, 1
	s_mov_b32 s2, 0
	s_cselect_b32 vcc_lo, -1, 0
	s_branch .LBB7_4
.LBB7_3:                                ;   in Loop: Header=BB7_4 Depth=1
	s_wait_xcnt 0x0
	s_or_b32 exec_lo, exec_lo, s0
	v_add_nc_u32_e32 v2, 64, v2
	s_delay_alu instid0(VALU_DEP_1) | instskip(SKIP_1) | instid1(SALU_CYCLE_1)
	v_cmp_le_i32_e64 s0, s13, v2
	s_or_b32 s2, s0, s2
	s_and_not1_b32 exec_lo, exec_lo, s2
	s_cbranch_execz .LBB7_6
.LBB7_4:                                ; =>This Inner Loop Header: Depth=1
	s_delay_alu instid0(VALU_DEP_2) | instskip(SKIP_3) | instid1(VALU_DEP_1)
	v_add_nc_u32_e32 v0, v3, v2
	global_load_b32 v4, v0, s[6:7] scale_offset
	s_wait_loadcnt 0x0
	v_subrev_nc_u32_e32 v4, s12, v4
	v_cmp_lt_i32_e64 s0, -1, v4
	v_cmp_gt_i32_e64 s1, s14, v4
	s_and_b32 s1, s0, s1
	s_wait_xcnt 0x0
	s_and_saveexec_b32 s0, s1
	s_cbranch_execz .LBB7_3
; %bb.5:                                ;   in Loop: Header=BB7_4 Depth=1
	v_lshl_add_u64 v[6:7], v[0:1], 3, s[4:5]
	v_dual_cndmask_b32 v0, v2, v4, vcc_lo :: v_dual_cndmask_b32 v4, v4, v2, vcc_lo
	v_mov_b32_e32 v5, v1
	global_load_b64 v[6:7], v[6:7], off
	v_mul_u64_e32 v[8:9], s[10:11], v[0:1]
	s_delay_alu instid0(VALU_DEP_1) | instskip(NEXT) | instid1(VALU_DEP_1)
	v_lshl_add_u64 v[8:9], v[8:9], 3, s[8:9]
	v_lshl_add_u64 v[4:5], v[4:5], 3, v[8:9]
	s_wait_loadcnt 0x0
	global_store_b64 v[4:5], v[6:7], off
	s_branch .LBB7_3
.LBB7_6:
	s_endpgm
	.section	.rodata,"a",@progbits
	.p2align	6, 0x0
	.amdhsa_kernel _ZN9rocsparseL16ell2dense_kernelILi16ELi64Ei21rocsparse_complex_numIfEEEv21rocsparse_index_base_T1_S4_S4_PKT2_PKS4_PS5_l16rocsparse_order_
		.amdhsa_group_segment_fixed_size 0
		.amdhsa_private_segment_fixed_size 0
		.amdhsa_kernarg_size 52
		.amdhsa_user_sgpr_count 2
		.amdhsa_user_sgpr_dispatch_ptr 0
		.amdhsa_user_sgpr_queue_ptr 0
		.amdhsa_user_sgpr_kernarg_segment_ptr 1
		.amdhsa_user_sgpr_dispatch_id 0
		.amdhsa_user_sgpr_kernarg_preload_length 0
		.amdhsa_user_sgpr_kernarg_preload_offset 0
		.amdhsa_user_sgpr_private_segment_size 0
		.amdhsa_wavefront_size32 1
		.amdhsa_uses_dynamic_stack 0
		.amdhsa_enable_private_segment 0
		.amdhsa_system_sgpr_workgroup_id_x 1
		.amdhsa_system_sgpr_workgroup_id_y 0
		.amdhsa_system_sgpr_workgroup_id_z 0
		.amdhsa_system_sgpr_workgroup_info 0
		.amdhsa_system_vgpr_workitem_id 0
		.amdhsa_next_free_vgpr 10
		.amdhsa_next_free_sgpr 16
		.amdhsa_named_barrier_count 0
		.amdhsa_reserve_vcc 1
		.amdhsa_float_round_mode_32 0
		.amdhsa_float_round_mode_16_64 0
		.amdhsa_float_denorm_mode_32 3
		.amdhsa_float_denorm_mode_16_64 3
		.amdhsa_fp16_overflow 0
		.amdhsa_memory_ordered 1
		.amdhsa_forward_progress 1
		.amdhsa_inst_pref_size 3
		.amdhsa_round_robin_scheduling 0
		.amdhsa_exception_fp_ieee_invalid_op 0
		.amdhsa_exception_fp_denorm_src 0
		.amdhsa_exception_fp_ieee_div_zero 0
		.amdhsa_exception_fp_ieee_overflow 0
		.amdhsa_exception_fp_ieee_underflow 0
		.amdhsa_exception_fp_ieee_inexact 0
		.amdhsa_exception_int_div_zero 0
	.end_amdhsa_kernel
	.section	.text._ZN9rocsparseL16ell2dense_kernelILi16ELi64Ei21rocsparse_complex_numIfEEEv21rocsparse_index_base_T1_S4_S4_PKT2_PKS4_PS5_l16rocsparse_order_,"axG",@progbits,_ZN9rocsparseL16ell2dense_kernelILi16ELi64Ei21rocsparse_complex_numIfEEEv21rocsparse_index_base_T1_S4_S4_PKT2_PKS4_PS5_l16rocsparse_order_,comdat
.Lfunc_end7:
	.size	_ZN9rocsparseL16ell2dense_kernelILi16ELi64Ei21rocsparse_complex_numIfEEEv21rocsparse_index_base_T1_S4_S4_PKT2_PKS4_PS5_l16rocsparse_order_, .Lfunc_end7-_ZN9rocsparseL16ell2dense_kernelILi16ELi64Ei21rocsparse_complex_numIfEEEv21rocsparse_index_base_T1_S4_S4_PKT2_PKS4_PS5_l16rocsparse_order_
                                        ; -- End function
	.set _ZN9rocsparseL16ell2dense_kernelILi16ELi64Ei21rocsparse_complex_numIfEEEv21rocsparse_index_base_T1_S4_S4_PKT2_PKS4_PS5_l16rocsparse_order_.num_vgpr, 10
	.set _ZN9rocsparseL16ell2dense_kernelILi16ELi64Ei21rocsparse_complex_numIfEEEv21rocsparse_index_base_T1_S4_S4_PKT2_PKS4_PS5_l16rocsparse_order_.num_agpr, 0
	.set _ZN9rocsparseL16ell2dense_kernelILi16ELi64Ei21rocsparse_complex_numIfEEEv21rocsparse_index_base_T1_S4_S4_PKT2_PKS4_PS5_l16rocsparse_order_.numbered_sgpr, 16
	.set _ZN9rocsparseL16ell2dense_kernelILi16ELi64Ei21rocsparse_complex_numIfEEEv21rocsparse_index_base_T1_S4_S4_PKT2_PKS4_PS5_l16rocsparse_order_.num_named_barrier, 0
	.set _ZN9rocsparseL16ell2dense_kernelILi16ELi64Ei21rocsparse_complex_numIfEEEv21rocsparse_index_base_T1_S4_S4_PKT2_PKS4_PS5_l16rocsparse_order_.private_seg_size, 0
	.set _ZN9rocsparseL16ell2dense_kernelILi16ELi64Ei21rocsparse_complex_numIfEEEv21rocsparse_index_base_T1_S4_S4_PKT2_PKS4_PS5_l16rocsparse_order_.uses_vcc, 1
	.set _ZN9rocsparseL16ell2dense_kernelILi16ELi64Ei21rocsparse_complex_numIfEEEv21rocsparse_index_base_T1_S4_S4_PKT2_PKS4_PS5_l16rocsparse_order_.uses_flat_scratch, 0
	.set _ZN9rocsparseL16ell2dense_kernelILi16ELi64Ei21rocsparse_complex_numIfEEEv21rocsparse_index_base_T1_S4_S4_PKT2_PKS4_PS5_l16rocsparse_order_.has_dyn_sized_stack, 0
	.set _ZN9rocsparseL16ell2dense_kernelILi16ELi64Ei21rocsparse_complex_numIfEEEv21rocsparse_index_base_T1_S4_S4_PKT2_PKS4_PS5_l16rocsparse_order_.has_recursion, 0
	.set _ZN9rocsparseL16ell2dense_kernelILi16ELi64Ei21rocsparse_complex_numIfEEEv21rocsparse_index_base_T1_S4_S4_PKT2_PKS4_PS5_l16rocsparse_order_.has_indirect_call, 0
	.section	.AMDGPU.csdata,"",@progbits
; Kernel info:
; codeLenInByte = 336
; TotalNumSgprs: 18
; NumVgprs: 10
; ScratchSize: 0
; MemoryBound: 0
; FloatMode: 240
; IeeeMode: 1
; LDSByteSize: 0 bytes/workgroup (compile time only)
; SGPRBlocks: 0
; VGPRBlocks: 0
; NumSGPRsForWavesPerEU: 18
; NumVGPRsForWavesPerEU: 10
; NamedBarCnt: 0
; Occupancy: 16
; WaveLimiterHint : 1
; COMPUTE_PGM_RSRC2:SCRATCH_EN: 0
; COMPUTE_PGM_RSRC2:USER_SGPR: 2
; COMPUTE_PGM_RSRC2:TRAP_HANDLER: 0
; COMPUTE_PGM_RSRC2:TGID_X_EN: 1
; COMPUTE_PGM_RSRC2:TGID_Y_EN: 0
; COMPUTE_PGM_RSRC2:TGID_Z_EN: 0
; COMPUTE_PGM_RSRC2:TIDIG_COMP_CNT: 0
	.section	.text._ZN9rocsparseL16ell2dense_kernelILi16ELi32Ei21rocsparse_complex_numIdEEEv21rocsparse_index_base_T1_S4_S4_PKT2_PKS4_PS5_l16rocsparse_order_,"axG",@progbits,_ZN9rocsparseL16ell2dense_kernelILi16ELi32Ei21rocsparse_complex_numIdEEEv21rocsparse_index_base_T1_S4_S4_PKT2_PKS4_PS5_l16rocsparse_order_,comdat
	.globl	_ZN9rocsparseL16ell2dense_kernelILi16ELi32Ei21rocsparse_complex_numIdEEEv21rocsparse_index_base_T1_S4_S4_PKT2_PKS4_PS5_l16rocsparse_order_ ; -- Begin function _ZN9rocsparseL16ell2dense_kernelILi16ELi32Ei21rocsparse_complex_numIdEEEv21rocsparse_index_base_T1_S4_S4_PKT2_PKS4_PS5_l16rocsparse_order_
	.p2align	8
	.type	_ZN9rocsparseL16ell2dense_kernelILi16ELi32Ei21rocsparse_complex_numIdEEEv21rocsparse_index_base_T1_S4_S4_PKT2_PKS4_PS5_l16rocsparse_order_,@function
_ZN9rocsparseL16ell2dense_kernelILi16ELi32Ei21rocsparse_complex_numIdEEEv21rocsparse_index_base_T1_S4_S4_PKT2_PKS4_PS5_l16rocsparse_order_: ; @_ZN9rocsparseL16ell2dense_kernelILi16ELi32Ei21rocsparse_complex_numIdEEEv21rocsparse_index_base_T1_S4_S4_PKT2_PKS4_PS5_l16rocsparse_order_
; %bb.0:
	s_load_b128 s[12:15], s[0:1], 0x0
	s_bfe_u32 s2, ttmp6, 0x4000c
	s_and_b32 s3, ttmp6, 15
	s_add_co_i32 s2, s2, 1
	s_getreg_b32 s4, hwreg(HW_REG_IB_STS2, 6, 4)
	s_mul_i32 s2, ttmp9, s2
	v_lshrrev_b32_e32 v1, 5, v0
	s_add_co_i32 s3, s3, s2
	s_cmp_eq_u32 s4, 0
	s_cselect_b32 s2, ttmp9, s3
	s_delay_alu instid0(VALU_DEP_1) | instid1(SALU_CYCLE_1)
	v_lshl_or_b32 v1, s2, 4, v1
	s_mov_b32 s2, exec_lo
	s_wait_kmcnt 0x0
	s_delay_alu instid0(VALU_DEP_1)
	v_cmpx_gt_u32_e64 s15, v1
	s_cbranch_execz .LBB8_6
; %bb.1:
	v_and_b32_e32 v2, 31, v0
	s_delay_alu instid0(VALU_DEP_1)
	v_cmp_gt_i32_e32 vcc_lo, s13, v2
	s_and_b32 exec_lo, exec_lo, vcc_lo
	s_cbranch_execz .LBB8_6
; %bb.2:
	s_clause 0x1
	s_load_b32 s2, s[0:1], 0x30
	s_load_b256 s[4:11], s[0:1], 0x10
	v_mul_lo_u32 v3, s13, v1
	v_mov_b32_e32 v1, 0
	s_wait_kmcnt 0x0
	s_cmp_eq_u32 s2, 1
	s_mov_b32 s2, 0
	s_cselect_b32 vcc_lo, -1, 0
	s_branch .LBB8_4
.LBB8_3:                                ;   in Loop: Header=BB8_4 Depth=1
	s_wait_xcnt 0x0
	s_or_b32 exec_lo, exec_lo, s0
	v_add_nc_u32_e32 v2, 32, v2
	s_delay_alu instid0(VALU_DEP_1) | instskip(SKIP_1) | instid1(SALU_CYCLE_1)
	v_cmp_le_i32_e64 s0, s13, v2
	s_or_b32 s2, s0, s2
	s_and_not1_b32 exec_lo, exec_lo, s2
	s_cbranch_execz .LBB8_6
.LBB8_4:                                ; =>This Inner Loop Header: Depth=1
	s_delay_alu instid0(VALU_DEP_2) | instskip(SKIP_3) | instid1(VALU_DEP_1)
	v_add_nc_u32_e32 v0, v3, v2
	global_load_b32 v4, v0, s[6:7] scale_offset
	s_wait_loadcnt 0x0
	v_subrev_nc_u32_e32 v4, s12, v4
	v_cmp_lt_i32_e64 s0, -1, v4
	v_cmp_gt_i32_e64 s1, s14, v4
	s_and_b32 s1, s0, s1
	s_wait_xcnt 0x0
	s_and_saveexec_b32 s0, s1
	s_cbranch_execz .LBB8_3
; %bb.5:                                ;   in Loop: Header=BB8_4 Depth=1
	v_lshl_add_u64 v[6:7], v[0:1], 4, s[4:5]
	v_dual_cndmask_b32 v0, v2, v4, vcc_lo :: v_dual_cndmask_b32 v4, v4, v2, vcc_lo
	v_mov_b32_e32 v5, v1
	global_load_b128 v[6:9], v[6:7], off
	v_mul_u64_e32 v[10:11], s[10:11], v[0:1]
	s_delay_alu instid0(VALU_DEP_1) | instskip(NEXT) | instid1(VALU_DEP_1)
	v_lshl_add_u64 v[10:11], v[10:11], 4, s[8:9]
	v_lshl_add_u64 v[4:5], v[4:5], 4, v[10:11]
	s_wait_loadcnt 0x0
	global_store_b128 v[4:5], v[6:9], off
	s_branch .LBB8_3
.LBB8_6:
	s_endpgm
	.section	.rodata,"a",@progbits
	.p2align	6, 0x0
	.amdhsa_kernel _ZN9rocsparseL16ell2dense_kernelILi16ELi32Ei21rocsparse_complex_numIdEEEv21rocsparse_index_base_T1_S4_S4_PKT2_PKS4_PS5_l16rocsparse_order_
		.amdhsa_group_segment_fixed_size 0
		.amdhsa_private_segment_fixed_size 0
		.amdhsa_kernarg_size 52
		.amdhsa_user_sgpr_count 2
		.amdhsa_user_sgpr_dispatch_ptr 0
		.amdhsa_user_sgpr_queue_ptr 0
		.amdhsa_user_sgpr_kernarg_segment_ptr 1
		.amdhsa_user_sgpr_dispatch_id 0
		.amdhsa_user_sgpr_kernarg_preload_length 0
		.amdhsa_user_sgpr_kernarg_preload_offset 0
		.amdhsa_user_sgpr_private_segment_size 0
		.amdhsa_wavefront_size32 1
		.amdhsa_uses_dynamic_stack 0
		.amdhsa_enable_private_segment 0
		.amdhsa_system_sgpr_workgroup_id_x 1
		.amdhsa_system_sgpr_workgroup_id_y 0
		.amdhsa_system_sgpr_workgroup_id_z 0
		.amdhsa_system_sgpr_workgroup_info 0
		.amdhsa_system_vgpr_workitem_id 0
		.amdhsa_next_free_vgpr 12
		.amdhsa_next_free_sgpr 16
		.amdhsa_named_barrier_count 0
		.amdhsa_reserve_vcc 1
		.amdhsa_float_round_mode_32 0
		.amdhsa_float_round_mode_16_64 0
		.amdhsa_float_denorm_mode_32 3
		.amdhsa_float_denorm_mode_16_64 3
		.amdhsa_fp16_overflow 0
		.amdhsa_memory_ordered 1
		.amdhsa_forward_progress 1
		.amdhsa_inst_pref_size 3
		.amdhsa_round_robin_scheduling 0
		.amdhsa_exception_fp_ieee_invalid_op 0
		.amdhsa_exception_fp_denorm_src 0
		.amdhsa_exception_fp_ieee_div_zero 0
		.amdhsa_exception_fp_ieee_overflow 0
		.amdhsa_exception_fp_ieee_underflow 0
		.amdhsa_exception_fp_ieee_inexact 0
		.amdhsa_exception_int_div_zero 0
	.end_amdhsa_kernel
	.section	.text._ZN9rocsparseL16ell2dense_kernelILi16ELi32Ei21rocsparse_complex_numIdEEEv21rocsparse_index_base_T1_S4_S4_PKT2_PKS4_PS5_l16rocsparse_order_,"axG",@progbits,_ZN9rocsparseL16ell2dense_kernelILi16ELi32Ei21rocsparse_complex_numIdEEEv21rocsparse_index_base_T1_S4_S4_PKT2_PKS4_PS5_l16rocsparse_order_,comdat
.Lfunc_end8:
	.size	_ZN9rocsparseL16ell2dense_kernelILi16ELi32Ei21rocsparse_complex_numIdEEEv21rocsparse_index_base_T1_S4_S4_PKT2_PKS4_PS5_l16rocsparse_order_, .Lfunc_end8-_ZN9rocsparseL16ell2dense_kernelILi16ELi32Ei21rocsparse_complex_numIdEEEv21rocsparse_index_base_T1_S4_S4_PKT2_PKS4_PS5_l16rocsparse_order_
                                        ; -- End function
	.set _ZN9rocsparseL16ell2dense_kernelILi16ELi32Ei21rocsparse_complex_numIdEEEv21rocsparse_index_base_T1_S4_S4_PKT2_PKS4_PS5_l16rocsparse_order_.num_vgpr, 12
	.set _ZN9rocsparseL16ell2dense_kernelILi16ELi32Ei21rocsparse_complex_numIdEEEv21rocsparse_index_base_T1_S4_S4_PKT2_PKS4_PS5_l16rocsparse_order_.num_agpr, 0
	.set _ZN9rocsparseL16ell2dense_kernelILi16ELi32Ei21rocsparse_complex_numIdEEEv21rocsparse_index_base_T1_S4_S4_PKT2_PKS4_PS5_l16rocsparse_order_.numbered_sgpr, 16
	.set _ZN9rocsparseL16ell2dense_kernelILi16ELi32Ei21rocsparse_complex_numIdEEEv21rocsparse_index_base_T1_S4_S4_PKT2_PKS4_PS5_l16rocsparse_order_.num_named_barrier, 0
	.set _ZN9rocsparseL16ell2dense_kernelILi16ELi32Ei21rocsparse_complex_numIdEEEv21rocsparse_index_base_T1_S4_S4_PKT2_PKS4_PS5_l16rocsparse_order_.private_seg_size, 0
	.set _ZN9rocsparseL16ell2dense_kernelILi16ELi32Ei21rocsparse_complex_numIdEEEv21rocsparse_index_base_T1_S4_S4_PKT2_PKS4_PS5_l16rocsparse_order_.uses_vcc, 1
	.set _ZN9rocsparseL16ell2dense_kernelILi16ELi32Ei21rocsparse_complex_numIdEEEv21rocsparse_index_base_T1_S4_S4_PKT2_PKS4_PS5_l16rocsparse_order_.uses_flat_scratch, 0
	.set _ZN9rocsparseL16ell2dense_kernelILi16ELi32Ei21rocsparse_complex_numIdEEEv21rocsparse_index_base_T1_S4_S4_PKT2_PKS4_PS5_l16rocsparse_order_.has_dyn_sized_stack, 0
	.set _ZN9rocsparseL16ell2dense_kernelILi16ELi32Ei21rocsparse_complex_numIdEEEv21rocsparse_index_base_T1_S4_S4_PKT2_PKS4_PS5_l16rocsparse_order_.has_recursion, 0
	.set _ZN9rocsparseL16ell2dense_kernelILi16ELi32Ei21rocsparse_complex_numIdEEEv21rocsparse_index_base_T1_S4_S4_PKT2_PKS4_PS5_l16rocsparse_order_.has_indirect_call, 0
	.section	.AMDGPU.csdata,"",@progbits
; Kernel info:
; codeLenInByte = 336
; TotalNumSgprs: 18
; NumVgprs: 12
; ScratchSize: 0
; MemoryBound: 0
; FloatMode: 240
; IeeeMode: 1
; LDSByteSize: 0 bytes/workgroup (compile time only)
; SGPRBlocks: 0
; VGPRBlocks: 0
; NumSGPRsForWavesPerEU: 18
; NumVGPRsForWavesPerEU: 12
; NamedBarCnt: 0
; Occupancy: 16
; WaveLimiterHint : 1
; COMPUTE_PGM_RSRC2:SCRATCH_EN: 0
; COMPUTE_PGM_RSRC2:USER_SGPR: 2
; COMPUTE_PGM_RSRC2:TRAP_HANDLER: 0
; COMPUTE_PGM_RSRC2:TGID_X_EN: 1
; COMPUTE_PGM_RSRC2:TGID_Y_EN: 0
; COMPUTE_PGM_RSRC2:TGID_Z_EN: 0
; COMPUTE_PGM_RSRC2:TIDIG_COMP_CNT: 0
	.section	.text._ZN9rocsparseL16ell2dense_kernelILi16ELi64Ei21rocsparse_complex_numIdEEEv21rocsparse_index_base_T1_S4_S4_PKT2_PKS4_PS5_l16rocsparse_order_,"axG",@progbits,_ZN9rocsparseL16ell2dense_kernelILi16ELi64Ei21rocsparse_complex_numIdEEEv21rocsparse_index_base_T1_S4_S4_PKT2_PKS4_PS5_l16rocsparse_order_,comdat
	.globl	_ZN9rocsparseL16ell2dense_kernelILi16ELi64Ei21rocsparse_complex_numIdEEEv21rocsparse_index_base_T1_S4_S4_PKT2_PKS4_PS5_l16rocsparse_order_ ; -- Begin function _ZN9rocsparseL16ell2dense_kernelILi16ELi64Ei21rocsparse_complex_numIdEEEv21rocsparse_index_base_T1_S4_S4_PKT2_PKS4_PS5_l16rocsparse_order_
	.p2align	8
	.type	_ZN9rocsparseL16ell2dense_kernelILi16ELi64Ei21rocsparse_complex_numIdEEEv21rocsparse_index_base_T1_S4_S4_PKT2_PKS4_PS5_l16rocsparse_order_,@function
_ZN9rocsparseL16ell2dense_kernelILi16ELi64Ei21rocsparse_complex_numIdEEEv21rocsparse_index_base_T1_S4_S4_PKT2_PKS4_PS5_l16rocsparse_order_: ; @_ZN9rocsparseL16ell2dense_kernelILi16ELi64Ei21rocsparse_complex_numIdEEEv21rocsparse_index_base_T1_S4_S4_PKT2_PKS4_PS5_l16rocsparse_order_
; %bb.0:
	s_load_b128 s[12:15], s[0:1], 0x0
	s_bfe_u32 s2, ttmp6, 0x4000c
	s_and_b32 s3, ttmp6, 15
	s_add_co_i32 s2, s2, 1
	s_getreg_b32 s4, hwreg(HW_REG_IB_STS2, 6, 4)
	s_mul_i32 s2, ttmp9, s2
	v_lshrrev_b32_e32 v1, 6, v0
	s_add_co_i32 s3, s3, s2
	s_cmp_eq_u32 s4, 0
	s_cselect_b32 s2, ttmp9, s3
	s_delay_alu instid0(VALU_DEP_1) | instid1(SALU_CYCLE_1)
	v_lshl_or_b32 v1, s2, 4, v1
	s_mov_b32 s2, exec_lo
	s_wait_kmcnt 0x0
	s_delay_alu instid0(VALU_DEP_1)
	v_cmpx_gt_u32_e64 s15, v1
	s_cbranch_execz .LBB9_6
; %bb.1:
	v_and_b32_e32 v2, 63, v0
	s_delay_alu instid0(VALU_DEP_1)
	v_cmp_gt_i32_e32 vcc_lo, s13, v2
	s_and_b32 exec_lo, exec_lo, vcc_lo
	s_cbranch_execz .LBB9_6
; %bb.2:
	s_clause 0x1
	s_load_b32 s2, s[0:1], 0x30
	s_load_b256 s[4:11], s[0:1], 0x10
	v_mul_lo_u32 v3, s13, v1
	v_mov_b32_e32 v1, 0
	s_wait_kmcnt 0x0
	s_cmp_eq_u32 s2, 1
	s_mov_b32 s2, 0
	s_cselect_b32 vcc_lo, -1, 0
	s_branch .LBB9_4
.LBB9_3:                                ;   in Loop: Header=BB9_4 Depth=1
	s_wait_xcnt 0x0
	s_or_b32 exec_lo, exec_lo, s0
	v_add_nc_u32_e32 v2, 64, v2
	s_delay_alu instid0(VALU_DEP_1) | instskip(SKIP_1) | instid1(SALU_CYCLE_1)
	v_cmp_le_i32_e64 s0, s13, v2
	s_or_b32 s2, s0, s2
	s_and_not1_b32 exec_lo, exec_lo, s2
	s_cbranch_execz .LBB9_6
.LBB9_4:                                ; =>This Inner Loop Header: Depth=1
	s_delay_alu instid0(VALU_DEP_2) | instskip(SKIP_3) | instid1(VALU_DEP_1)
	v_add_nc_u32_e32 v0, v3, v2
	global_load_b32 v4, v0, s[6:7] scale_offset
	s_wait_loadcnt 0x0
	v_subrev_nc_u32_e32 v4, s12, v4
	v_cmp_lt_i32_e64 s0, -1, v4
	v_cmp_gt_i32_e64 s1, s14, v4
	s_and_b32 s1, s0, s1
	s_wait_xcnt 0x0
	s_and_saveexec_b32 s0, s1
	s_cbranch_execz .LBB9_3
; %bb.5:                                ;   in Loop: Header=BB9_4 Depth=1
	v_lshl_add_u64 v[6:7], v[0:1], 4, s[4:5]
	v_dual_cndmask_b32 v0, v2, v4, vcc_lo :: v_dual_cndmask_b32 v4, v4, v2, vcc_lo
	v_mov_b32_e32 v5, v1
	global_load_b128 v[6:9], v[6:7], off
	v_mul_u64_e32 v[10:11], s[10:11], v[0:1]
	s_delay_alu instid0(VALU_DEP_1) | instskip(NEXT) | instid1(VALU_DEP_1)
	v_lshl_add_u64 v[10:11], v[10:11], 4, s[8:9]
	v_lshl_add_u64 v[4:5], v[4:5], 4, v[10:11]
	s_wait_loadcnt 0x0
	global_store_b128 v[4:5], v[6:9], off
	s_branch .LBB9_3
.LBB9_6:
	s_endpgm
	.section	.rodata,"a",@progbits
	.p2align	6, 0x0
	.amdhsa_kernel _ZN9rocsparseL16ell2dense_kernelILi16ELi64Ei21rocsparse_complex_numIdEEEv21rocsparse_index_base_T1_S4_S4_PKT2_PKS4_PS5_l16rocsparse_order_
		.amdhsa_group_segment_fixed_size 0
		.amdhsa_private_segment_fixed_size 0
		.amdhsa_kernarg_size 52
		.amdhsa_user_sgpr_count 2
		.amdhsa_user_sgpr_dispatch_ptr 0
		.amdhsa_user_sgpr_queue_ptr 0
		.amdhsa_user_sgpr_kernarg_segment_ptr 1
		.amdhsa_user_sgpr_dispatch_id 0
		.amdhsa_user_sgpr_kernarg_preload_length 0
		.amdhsa_user_sgpr_kernarg_preload_offset 0
		.amdhsa_user_sgpr_private_segment_size 0
		.amdhsa_wavefront_size32 1
		.amdhsa_uses_dynamic_stack 0
		.amdhsa_enable_private_segment 0
		.amdhsa_system_sgpr_workgroup_id_x 1
		.amdhsa_system_sgpr_workgroup_id_y 0
		.amdhsa_system_sgpr_workgroup_id_z 0
		.amdhsa_system_sgpr_workgroup_info 0
		.amdhsa_system_vgpr_workitem_id 0
		.amdhsa_next_free_vgpr 12
		.amdhsa_next_free_sgpr 16
		.amdhsa_named_barrier_count 0
		.amdhsa_reserve_vcc 1
		.amdhsa_float_round_mode_32 0
		.amdhsa_float_round_mode_16_64 0
		.amdhsa_float_denorm_mode_32 3
		.amdhsa_float_denorm_mode_16_64 3
		.amdhsa_fp16_overflow 0
		.amdhsa_memory_ordered 1
		.amdhsa_forward_progress 1
		.amdhsa_inst_pref_size 3
		.amdhsa_round_robin_scheduling 0
		.amdhsa_exception_fp_ieee_invalid_op 0
		.amdhsa_exception_fp_denorm_src 0
		.amdhsa_exception_fp_ieee_div_zero 0
		.amdhsa_exception_fp_ieee_overflow 0
		.amdhsa_exception_fp_ieee_underflow 0
		.amdhsa_exception_fp_ieee_inexact 0
		.amdhsa_exception_int_div_zero 0
	.end_amdhsa_kernel
	.section	.text._ZN9rocsparseL16ell2dense_kernelILi16ELi64Ei21rocsparse_complex_numIdEEEv21rocsparse_index_base_T1_S4_S4_PKT2_PKS4_PS5_l16rocsparse_order_,"axG",@progbits,_ZN9rocsparseL16ell2dense_kernelILi16ELi64Ei21rocsparse_complex_numIdEEEv21rocsparse_index_base_T1_S4_S4_PKT2_PKS4_PS5_l16rocsparse_order_,comdat
.Lfunc_end9:
	.size	_ZN9rocsparseL16ell2dense_kernelILi16ELi64Ei21rocsparse_complex_numIdEEEv21rocsparse_index_base_T1_S4_S4_PKT2_PKS4_PS5_l16rocsparse_order_, .Lfunc_end9-_ZN9rocsparseL16ell2dense_kernelILi16ELi64Ei21rocsparse_complex_numIdEEEv21rocsparse_index_base_T1_S4_S4_PKT2_PKS4_PS5_l16rocsparse_order_
                                        ; -- End function
	.set _ZN9rocsparseL16ell2dense_kernelILi16ELi64Ei21rocsparse_complex_numIdEEEv21rocsparse_index_base_T1_S4_S4_PKT2_PKS4_PS5_l16rocsparse_order_.num_vgpr, 12
	.set _ZN9rocsparseL16ell2dense_kernelILi16ELi64Ei21rocsparse_complex_numIdEEEv21rocsparse_index_base_T1_S4_S4_PKT2_PKS4_PS5_l16rocsparse_order_.num_agpr, 0
	.set _ZN9rocsparseL16ell2dense_kernelILi16ELi64Ei21rocsparse_complex_numIdEEEv21rocsparse_index_base_T1_S4_S4_PKT2_PKS4_PS5_l16rocsparse_order_.numbered_sgpr, 16
	.set _ZN9rocsparseL16ell2dense_kernelILi16ELi64Ei21rocsparse_complex_numIdEEEv21rocsparse_index_base_T1_S4_S4_PKT2_PKS4_PS5_l16rocsparse_order_.num_named_barrier, 0
	.set _ZN9rocsparseL16ell2dense_kernelILi16ELi64Ei21rocsparse_complex_numIdEEEv21rocsparse_index_base_T1_S4_S4_PKT2_PKS4_PS5_l16rocsparse_order_.private_seg_size, 0
	.set _ZN9rocsparseL16ell2dense_kernelILi16ELi64Ei21rocsparse_complex_numIdEEEv21rocsparse_index_base_T1_S4_S4_PKT2_PKS4_PS5_l16rocsparse_order_.uses_vcc, 1
	.set _ZN9rocsparseL16ell2dense_kernelILi16ELi64Ei21rocsparse_complex_numIdEEEv21rocsparse_index_base_T1_S4_S4_PKT2_PKS4_PS5_l16rocsparse_order_.uses_flat_scratch, 0
	.set _ZN9rocsparseL16ell2dense_kernelILi16ELi64Ei21rocsparse_complex_numIdEEEv21rocsparse_index_base_T1_S4_S4_PKT2_PKS4_PS5_l16rocsparse_order_.has_dyn_sized_stack, 0
	.set _ZN9rocsparseL16ell2dense_kernelILi16ELi64Ei21rocsparse_complex_numIdEEEv21rocsparse_index_base_T1_S4_S4_PKT2_PKS4_PS5_l16rocsparse_order_.has_recursion, 0
	.set _ZN9rocsparseL16ell2dense_kernelILi16ELi64Ei21rocsparse_complex_numIdEEEv21rocsparse_index_base_T1_S4_S4_PKT2_PKS4_PS5_l16rocsparse_order_.has_indirect_call, 0
	.section	.AMDGPU.csdata,"",@progbits
; Kernel info:
; codeLenInByte = 336
; TotalNumSgprs: 18
; NumVgprs: 12
; ScratchSize: 0
; MemoryBound: 0
; FloatMode: 240
; IeeeMode: 1
; LDSByteSize: 0 bytes/workgroup (compile time only)
; SGPRBlocks: 0
; VGPRBlocks: 0
; NumSGPRsForWavesPerEU: 18
; NumVGPRsForWavesPerEU: 12
; NamedBarCnt: 0
; Occupancy: 16
; WaveLimiterHint : 1
; COMPUTE_PGM_RSRC2:SCRATCH_EN: 0
; COMPUTE_PGM_RSRC2:USER_SGPR: 2
; COMPUTE_PGM_RSRC2:TRAP_HANDLER: 0
; COMPUTE_PGM_RSRC2:TGID_X_EN: 1
; COMPUTE_PGM_RSRC2:TGID_Y_EN: 0
; COMPUTE_PGM_RSRC2:TGID_Z_EN: 0
; COMPUTE_PGM_RSRC2:TIDIG_COMP_CNT: 0
	.section	.text._ZN9rocsparseL16ell2dense_kernelILi16ELi32ElDF16_EEv21rocsparse_index_base_T1_S2_S2_PKT2_PKS2_PS3_l16rocsparse_order_,"axG",@progbits,_ZN9rocsparseL16ell2dense_kernelILi16ELi32ElDF16_EEv21rocsparse_index_base_T1_S2_S2_PKT2_PKS2_PS3_l16rocsparse_order_,comdat
	.globl	_ZN9rocsparseL16ell2dense_kernelILi16ELi32ElDF16_EEv21rocsparse_index_base_T1_S2_S2_PKT2_PKS2_PS3_l16rocsparse_order_ ; -- Begin function _ZN9rocsparseL16ell2dense_kernelILi16ELi32ElDF16_EEv21rocsparse_index_base_T1_S2_S2_PKT2_PKS2_PS3_l16rocsparse_order_
	.p2align	8
	.type	_ZN9rocsparseL16ell2dense_kernelILi16ELi32ElDF16_EEv21rocsparse_index_base_T1_S2_S2_PKT2_PKS2_PS3_l16rocsparse_order_,@function
_ZN9rocsparseL16ell2dense_kernelILi16ELi32ElDF16_EEv21rocsparse_index_base_T1_S2_S2_PKT2_PKS2_PS3_l16rocsparse_order_: ; @_ZN9rocsparseL16ell2dense_kernelILi16ELi32ElDF16_EEv21rocsparse_index_base_T1_S2_S2_PKT2_PKS2_PS3_l16rocsparse_order_
; %bb.0:
	s_load_b64 s[2:3], s[0:1], 0x18
	s_bfe_u32 s4, ttmp6, 0x4000c
	s_and_b32 s5, ttmp6, 15
	s_add_co_i32 s4, s4, 1
	s_getreg_b32 s6, hwreg(HW_REG_IB_STS2, 6, 4)
	s_mul_i32 s4, ttmp9, s4
	v_dual_mov_b32 v1, 0 :: v_dual_lshrrev_b32 v2, 5, v0
	s_add_co_i32 s5, s5, s4
	s_cmp_eq_u32 s6, 0
	s_cselect_b32 s4, ttmp9, s5
	s_delay_alu instid0(VALU_DEP_1) | instskip(SKIP_2) | instid1(VALU_DEP_1)
	v_mov_b32_e32 v3, v1
	v_lshl_or_b32 v2, s4, 4, v2
	s_wait_kmcnt 0x0
	v_cmp_gt_i64_e32 vcc_lo, s[2:3], v[2:3]
	s_and_saveexec_b32 s2, vcc_lo
	s_cbranch_execz .LBB10_6
; %bb.1:
	s_load_b128 s[12:15], s[0:1], 0x8
	v_and_b32_e32 v0, 31, v0
	s_wait_kmcnt 0x0
	s_delay_alu instid0(VALU_DEP_1)
	v_cmp_gt_i64_e32 vcc_lo, s[12:13], v[0:1]
	s_and_b32 exec_lo, exec_lo, vcc_lo
	s_cbranch_execz .LBB10_6
; %bb.2:
	v_mad_nc_u64_u32 v[4:5], s12, v2, v[0:1]
	s_clause 0x2
	s_load_b32 s3, s[0:1], 0x40
	s_load_b256 s[4:11], s[0:1], 0x20
	s_load_b32 s2, s[0:1], 0x0
	s_delay_alu instid0(VALU_DEP_1) | instskip(SKIP_4) | instid1(VALU_DEP_1)
	v_mad_u32 v5, s13, v2, v5
	s_wait_kmcnt 0x0
	s_cmp_eq_u32 s3, 1
	s_mov_b32 s3, 0
	s_cselect_b32 vcc_lo, -1, 0
	v_lshl_add_u64 v[2:3], v[4:5], 3, s[6:7]
	v_lshl_add_u64 v[4:5], v[4:5], 1, s[4:5]
	s_mov_b32 s4, s3
	s_branch .LBB10_4
.LBB10_3:                               ;   in Loop: Header=BB10_4 Depth=1
	s_wait_xcnt 0x0
	s_or_b32 exec_lo, exec_lo, s0
	v_add_nc_u64_e32 v[0:1], 32, v[0:1]
	v_add_nc_u64_e32 v[2:3], 0x100, v[2:3]
	;; [unrolled: 1-line block ×3, first 2 shown]
	s_delay_alu instid0(VALU_DEP_3) | instskip(SKIP_1) | instid1(SALU_CYCLE_1)
	v_cmp_le_i64_e64 s0, s[12:13], v[0:1]
	s_or_b32 s4, s0, s4
	s_and_not1_b32 exec_lo, exec_lo, s4
	s_cbranch_execz .LBB10_6
.LBB10_4:                               ; =>This Inner Loop Header: Depth=1
	global_load_b64 v[6:7], v[2:3], off
	s_wait_loadcnt 0x0
	v_sub_nc_u64_e64 v[6:7], v[6:7], s[2:3]
	s_delay_alu instid0(VALU_DEP_1)
	v_cmp_lt_i64_e64 s0, -1, v[6:7]
	v_cmp_gt_i64_e64 s1, s[14:15], v[6:7]
	s_and_b32 s1, s0, s1
	s_wait_xcnt 0x0
	s_and_saveexec_b32 s0, s1
	s_cbranch_execz .LBB10_3
; %bb.5:                                ;   in Loop: Header=BB10_4 Depth=1
	global_load_u16 v10, v[4:5], off
	v_dual_cndmask_b32 v9, v1, v7 :: v_dual_cndmask_b32 v8, v0, v6
	v_dual_cndmask_b32 v7, v7, v1 :: v_dual_cndmask_b32 v6, v6, v0
	s_delay_alu instid0(VALU_DEP_2) | instskip(NEXT) | instid1(VALU_DEP_1)
	v_mul_u64_e32 v[8:9], s[10:11], v[8:9]
	v_lshl_add_u64 v[8:9], v[8:9], 1, s[8:9]
	s_delay_alu instid0(VALU_DEP_1)
	v_lshl_add_u64 v[6:7], v[6:7], 1, v[8:9]
	s_wait_loadcnt 0x0
	global_store_b16 v[6:7], v10, off
	s_branch .LBB10_3
.LBB10_6:
	s_endpgm
	.section	.rodata,"a",@progbits
	.p2align	6, 0x0
	.amdhsa_kernel _ZN9rocsparseL16ell2dense_kernelILi16ELi32ElDF16_EEv21rocsparse_index_base_T1_S2_S2_PKT2_PKS2_PS3_l16rocsparse_order_
		.amdhsa_group_segment_fixed_size 0
		.amdhsa_private_segment_fixed_size 0
		.amdhsa_kernarg_size 68
		.amdhsa_user_sgpr_count 2
		.amdhsa_user_sgpr_dispatch_ptr 0
		.amdhsa_user_sgpr_queue_ptr 0
		.amdhsa_user_sgpr_kernarg_segment_ptr 1
		.amdhsa_user_sgpr_dispatch_id 0
		.amdhsa_user_sgpr_kernarg_preload_length 0
		.amdhsa_user_sgpr_kernarg_preload_offset 0
		.amdhsa_user_sgpr_private_segment_size 0
		.amdhsa_wavefront_size32 1
		.amdhsa_uses_dynamic_stack 0
		.amdhsa_enable_private_segment 0
		.amdhsa_system_sgpr_workgroup_id_x 1
		.amdhsa_system_sgpr_workgroup_id_y 0
		.amdhsa_system_sgpr_workgroup_id_z 0
		.amdhsa_system_sgpr_workgroup_info 0
		.amdhsa_system_vgpr_workitem_id 0
		.amdhsa_next_free_vgpr 11
		.amdhsa_next_free_sgpr 16
		.amdhsa_named_barrier_count 0
		.amdhsa_reserve_vcc 1
		.amdhsa_float_round_mode_32 0
		.amdhsa_float_round_mode_16_64 0
		.amdhsa_float_denorm_mode_32 3
		.amdhsa_float_denorm_mode_16_64 3
		.amdhsa_fp16_overflow 0
		.amdhsa_memory_ordered 1
		.amdhsa_forward_progress 1
		.amdhsa_inst_pref_size 4
		.amdhsa_round_robin_scheduling 0
		.amdhsa_exception_fp_ieee_invalid_op 0
		.amdhsa_exception_fp_denorm_src 0
		.amdhsa_exception_fp_ieee_div_zero 0
		.amdhsa_exception_fp_ieee_overflow 0
		.amdhsa_exception_fp_ieee_underflow 0
		.amdhsa_exception_fp_ieee_inexact 0
		.amdhsa_exception_int_div_zero 0
	.end_amdhsa_kernel
	.section	.text._ZN9rocsparseL16ell2dense_kernelILi16ELi32ElDF16_EEv21rocsparse_index_base_T1_S2_S2_PKT2_PKS2_PS3_l16rocsparse_order_,"axG",@progbits,_ZN9rocsparseL16ell2dense_kernelILi16ELi32ElDF16_EEv21rocsparse_index_base_T1_S2_S2_PKT2_PKS2_PS3_l16rocsparse_order_,comdat
.Lfunc_end10:
	.size	_ZN9rocsparseL16ell2dense_kernelILi16ELi32ElDF16_EEv21rocsparse_index_base_T1_S2_S2_PKT2_PKS2_PS3_l16rocsparse_order_, .Lfunc_end10-_ZN9rocsparseL16ell2dense_kernelILi16ELi32ElDF16_EEv21rocsparse_index_base_T1_S2_S2_PKT2_PKS2_PS3_l16rocsparse_order_
                                        ; -- End function
	.set _ZN9rocsparseL16ell2dense_kernelILi16ELi32ElDF16_EEv21rocsparse_index_base_T1_S2_S2_PKT2_PKS2_PS3_l16rocsparse_order_.num_vgpr, 11
	.set _ZN9rocsparseL16ell2dense_kernelILi16ELi32ElDF16_EEv21rocsparse_index_base_T1_S2_S2_PKT2_PKS2_PS3_l16rocsparse_order_.num_agpr, 0
	.set _ZN9rocsparseL16ell2dense_kernelILi16ELi32ElDF16_EEv21rocsparse_index_base_T1_S2_S2_PKT2_PKS2_PS3_l16rocsparse_order_.numbered_sgpr, 16
	.set _ZN9rocsparseL16ell2dense_kernelILi16ELi32ElDF16_EEv21rocsparse_index_base_T1_S2_S2_PKT2_PKS2_PS3_l16rocsparse_order_.num_named_barrier, 0
	.set _ZN9rocsparseL16ell2dense_kernelILi16ELi32ElDF16_EEv21rocsparse_index_base_T1_S2_S2_PKT2_PKS2_PS3_l16rocsparse_order_.private_seg_size, 0
	.set _ZN9rocsparseL16ell2dense_kernelILi16ELi32ElDF16_EEv21rocsparse_index_base_T1_S2_S2_PKT2_PKS2_PS3_l16rocsparse_order_.uses_vcc, 1
	.set _ZN9rocsparseL16ell2dense_kernelILi16ELi32ElDF16_EEv21rocsparse_index_base_T1_S2_S2_PKT2_PKS2_PS3_l16rocsparse_order_.uses_flat_scratch, 0
	.set _ZN9rocsparseL16ell2dense_kernelILi16ELi32ElDF16_EEv21rocsparse_index_base_T1_S2_S2_PKT2_PKS2_PS3_l16rocsparse_order_.has_dyn_sized_stack, 0
	.set _ZN9rocsparseL16ell2dense_kernelILi16ELi32ElDF16_EEv21rocsparse_index_base_T1_S2_S2_PKT2_PKS2_PS3_l16rocsparse_order_.has_recursion, 0
	.set _ZN9rocsparseL16ell2dense_kernelILi16ELi32ElDF16_EEv21rocsparse_index_base_T1_S2_S2_PKT2_PKS2_PS3_l16rocsparse_order_.has_indirect_call, 0
	.section	.AMDGPU.csdata,"",@progbits
; Kernel info:
; codeLenInByte = 392
; TotalNumSgprs: 18
; NumVgprs: 11
; ScratchSize: 0
; MemoryBound: 0
; FloatMode: 240
; IeeeMode: 1
; LDSByteSize: 0 bytes/workgroup (compile time only)
; SGPRBlocks: 0
; VGPRBlocks: 0
; NumSGPRsForWavesPerEU: 18
; NumVGPRsForWavesPerEU: 11
; NamedBarCnt: 0
; Occupancy: 16
; WaveLimiterHint : 1
; COMPUTE_PGM_RSRC2:SCRATCH_EN: 0
; COMPUTE_PGM_RSRC2:USER_SGPR: 2
; COMPUTE_PGM_RSRC2:TRAP_HANDLER: 0
; COMPUTE_PGM_RSRC2:TGID_X_EN: 1
; COMPUTE_PGM_RSRC2:TGID_Y_EN: 0
; COMPUTE_PGM_RSRC2:TGID_Z_EN: 0
; COMPUTE_PGM_RSRC2:TIDIG_COMP_CNT: 0
	.section	.text._ZN9rocsparseL16ell2dense_kernelILi16ELi64ElDF16_EEv21rocsparse_index_base_T1_S2_S2_PKT2_PKS2_PS3_l16rocsparse_order_,"axG",@progbits,_ZN9rocsparseL16ell2dense_kernelILi16ELi64ElDF16_EEv21rocsparse_index_base_T1_S2_S2_PKT2_PKS2_PS3_l16rocsparse_order_,comdat
	.globl	_ZN9rocsparseL16ell2dense_kernelILi16ELi64ElDF16_EEv21rocsparse_index_base_T1_S2_S2_PKT2_PKS2_PS3_l16rocsparse_order_ ; -- Begin function _ZN9rocsparseL16ell2dense_kernelILi16ELi64ElDF16_EEv21rocsparse_index_base_T1_S2_S2_PKT2_PKS2_PS3_l16rocsparse_order_
	.p2align	8
	.type	_ZN9rocsparseL16ell2dense_kernelILi16ELi64ElDF16_EEv21rocsparse_index_base_T1_S2_S2_PKT2_PKS2_PS3_l16rocsparse_order_,@function
_ZN9rocsparseL16ell2dense_kernelILi16ELi64ElDF16_EEv21rocsparse_index_base_T1_S2_S2_PKT2_PKS2_PS3_l16rocsparse_order_: ; @_ZN9rocsparseL16ell2dense_kernelILi16ELi64ElDF16_EEv21rocsparse_index_base_T1_S2_S2_PKT2_PKS2_PS3_l16rocsparse_order_
; %bb.0:
	s_load_b64 s[2:3], s[0:1], 0x18
	s_bfe_u32 s4, ttmp6, 0x4000c
	s_and_b32 s5, ttmp6, 15
	s_add_co_i32 s4, s4, 1
	s_getreg_b32 s6, hwreg(HW_REG_IB_STS2, 6, 4)
	s_mul_i32 s4, ttmp9, s4
	v_dual_mov_b32 v1, 0 :: v_dual_lshrrev_b32 v2, 6, v0
	s_add_co_i32 s5, s5, s4
	s_cmp_eq_u32 s6, 0
	s_cselect_b32 s4, ttmp9, s5
	s_delay_alu instid0(VALU_DEP_1) | instskip(SKIP_2) | instid1(VALU_DEP_1)
	v_mov_b32_e32 v3, v1
	v_lshl_or_b32 v2, s4, 4, v2
	s_wait_kmcnt 0x0
	v_cmp_gt_i64_e32 vcc_lo, s[2:3], v[2:3]
	s_and_saveexec_b32 s2, vcc_lo
	s_cbranch_execz .LBB11_6
; %bb.1:
	s_load_b128 s[12:15], s[0:1], 0x8
	v_and_b32_e32 v0, 63, v0
	s_wait_kmcnt 0x0
	s_delay_alu instid0(VALU_DEP_1)
	v_cmp_gt_i64_e32 vcc_lo, s[12:13], v[0:1]
	s_and_b32 exec_lo, exec_lo, vcc_lo
	s_cbranch_execz .LBB11_6
; %bb.2:
	v_mad_nc_u64_u32 v[4:5], s12, v2, v[0:1]
	s_clause 0x2
	s_load_b32 s3, s[0:1], 0x40
	s_load_b256 s[4:11], s[0:1], 0x20
	s_load_b32 s2, s[0:1], 0x0
	s_delay_alu instid0(VALU_DEP_1) | instskip(SKIP_4) | instid1(VALU_DEP_1)
	v_mad_u32 v5, s13, v2, v5
	s_wait_kmcnt 0x0
	s_cmp_eq_u32 s3, 1
	s_mov_b32 s3, 0
	s_cselect_b32 vcc_lo, -1, 0
	v_lshl_add_u64 v[2:3], v[4:5], 3, s[6:7]
	v_lshl_add_u64 v[4:5], v[4:5], 1, s[4:5]
	s_mov_b32 s4, s3
	s_branch .LBB11_4
.LBB11_3:                               ;   in Loop: Header=BB11_4 Depth=1
	s_wait_xcnt 0x0
	s_or_b32 exec_lo, exec_lo, s0
	v_add_nc_u64_e32 v[0:1], 64, v[0:1]
	v_add_nc_u64_e32 v[2:3], 0x200, v[2:3]
	;; [unrolled: 1-line block ×3, first 2 shown]
	s_delay_alu instid0(VALU_DEP_3) | instskip(SKIP_1) | instid1(SALU_CYCLE_1)
	v_cmp_le_i64_e64 s0, s[12:13], v[0:1]
	s_or_b32 s4, s0, s4
	s_and_not1_b32 exec_lo, exec_lo, s4
	s_cbranch_execz .LBB11_6
.LBB11_4:                               ; =>This Inner Loop Header: Depth=1
	global_load_b64 v[6:7], v[2:3], off
	s_wait_loadcnt 0x0
	v_sub_nc_u64_e64 v[6:7], v[6:7], s[2:3]
	s_delay_alu instid0(VALU_DEP_1)
	v_cmp_lt_i64_e64 s0, -1, v[6:7]
	v_cmp_gt_i64_e64 s1, s[14:15], v[6:7]
	s_and_b32 s1, s0, s1
	s_wait_xcnt 0x0
	s_and_saveexec_b32 s0, s1
	s_cbranch_execz .LBB11_3
; %bb.5:                                ;   in Loop: Header=BB11_4 Depth=1
	global_load_u16 v10, v[4:5], off
	v_dual_cndmask_b32 v9, v1, v7 :: v_dual_cndmask_b32 v8, v0, v6
	v_dual_cndmask_b32 v7, v7, v1 :: v_dual_cndmask_b32 v6, v6, v0
	s_delay_alu instid0(VALU_DEP_2) | instskip(NEXT) | instid1(VALU_DEP_1)
	v_mul_u64_e32 v[8:9], s[10:11], v[8:9]
	v_lshl_add_u64 v[8:9], v[8:9], 1, s[8:9]
	s_delay_alu instid0(VALU_DEP_1)
	v_lshl_add_u64 v[6:7], v[6:7], 1, v[8:9]
	s_wait_loadcnt 0x0
	global_store_b16 v[6:7], v10, off
	s_branch .LBB11_3
.LBB11_6:
	s_endpgm
	.section	.rodata,"a",@progbits
	.p2align	6, 0x0
	.amdhsa_kernel _ZN9rocsparseL16ell2dense_kernelILi16ELi64ElDF16_EEv21rocsparse_index_base_T1_S2_S2_PKT2_PKS2_PS3_l16rocsparse_order_
		.amdhsa_group_segment_fixed_size 0
		.amdhsa_private_segment_fixed_size 0
		.amdhsa_kernarg_size 68
		.amdhsa_user_sgpr_count 2
		.amdhsa_user_sgpr_dispatch_ptr 0
		.amdhsa_user_sgpr_queue_ptr 0
		.amdhsa_user_sgpr_kernarg_segment_ptr 1
		.amdhsa_user_sgpr_dispatch_id 0
		.amdhsa_user_sgpr_kernarg_preload_length 0
		.amdhsa_user_sgpr_kernarg_preload_offset 0
		.amdhsa_user_sgpr_private_segment_size 0
		.amdhsa_wavefront_size32 1
		.amdhsa_uses_dynamic_stack 0
		.amdhsa_enable_private_segment 0
		.amdhsa_system_sgpr_workgroup_id_x 1
		.amdhsa_system_sgpr_workgroup_id_y 0
		.amdhsa_system_sgpr_workgroup_id_z 0
		.amdhsa_system_sgpr_workgroup_info 0
		.amdhsa_system_vgpr_workitem_id 0
		.amdhsa_next_free_vgpr 11
		.amdhsa_next_free_sgpr 16
		.amdhsa_named_barrier_count 0
		.amdhsa_reserve_vcc 1
		.amdhsa_float_round_mode_32 0
		.amdhsa_float_round_mode_16_64 0
		.amdhsa_float_denorm_mode_32 3
		.amdhsa_float_denorm_mode_16_64 3
		.amdhsa_fp16_overflow 0
		.amdhsa_memory_ordered 1
		.amdhsa_forward_progress 1
		.amdhsa_inst_pref_size 4
		.amdhsa_round_robin_scheduling 0
		.amdhsa_exception_fp_ieee_invalid_op 0
		.amdhsa_exception_fp_denorm_src 0
		.amdhsa_exception_fp_ieee_div_zero 0
		.amdhsa_exception_fp_ieee_overflow 0
		.amdhsa_exception_fp_ieee_underflow 0
		.amdhsa_exception_fp_ieee_inexact 0
		.amdhsa_exception_int_div_zero 0
	.end_amdhsa_kernel
	.section	.text._ZN9rocsparseL16ell2dense_kernelILi16ELi64ElDF16_EEv21rocsparse_index_base_T1_S2_S2_PKT2_PKS2_PS3_l16rocsparse_order_,"axG",@progbits,_ZN9rocsparseL16ell2dense_kernelILi16ELi64ElDF16_EEv21rocsparse_index_base_T1_S2_S2_PKT2_PKS2_PS3_l16rocsparse_order_,comdat
.Lfunc_end11:
	.size	_ZN9rocsparseL16ell2dense_kernelILi16ELi64ElDF16_EEv21rocsparse_index_base_T1_S2_S2_PKT2_PKS2_PS3_l16rocsparse_order_, .Lfunc_end11-_ZN9rocsparseL16ell2dense_kernelILi16ELi64ElDF16_EEv21rocsparse_index_base_T1_S2_S2_PKT2_PKS2_PS3_l16rocsparse_order_
                                        ; -- End function
	.set _ZN9rocsparseL16ell2dense_kernelILi16ELi64ElDF16_EEv21rocsparse_index_base_T1_S2_S2_PKT2_PKS2_PS3_l16rocsparse_order_.num_vgpr, 11
	.set _ZN9rocsparseL16ell2dense_kernelILi16ELi64ElDF16_EEv21rocsparse_index_base_T1_S2_S2_PKT2_PKS2_PS3_l16rocsparse_order_.num_agpr, 0
	.set _ZN9rocsparseL16ell2dense_kernelILi16ELi64ElDF16_EEv21rocsparse_index_base_T1_S2_S2_PKT2_PKS2_PS3_l16rocsparse_order_.numbered_sgpr, 16
	.set _ZN9rocsparseL16ell2dense_kernelILi16ELi64ElDF16_EEv21rocsparse_index_base_T1_S2_S2_PKT2_PKS2_PS3_l16rocsparse_order_.num_named_barrier, 0
	.set _ZN9rocsparseL16ell2dense_kernelILi16ELi64ElDF16_EEv21rocsparse_index_base_T1_S2_S2_PKT2_PKS2_PS3_l16rocsparse_order_.private_seg_size, 0
	.set _ZN9rocsparseL16ell2dense_kernelILi16ELi64ElDF16_EEv21rocsparse_index_base_T1_S2_S2_PKT2_PKS2_PS3_l16rocsparse_order_.uses_vcc, 1
	.set _ZN9rocsparseL16ell2dense_kernelILi16ELi64ElDF16_EEv21rocsparse_index_base_T1_S2_S2_PKT2_PKS2_PS3_l16rocsparse_order_.uses_flat_scratch, 0
	.set _ZN9rocsparseL16ell2dense_kernelILi16ELi64ElDF16_EEv21rocsparse_index_base_T1_S2_S2_PKT2_PKS2_PS3_l16rocsparse_order_.has_dyn_sized_stack, 0
	.set _ZN9rocsparseL16ell2dense_kernelILi16ELi64ElDF16_EEv21rocsparse_index_base_T1_S2_S2_PKT2_PKS2_PS3_l16rocsparse_order_.has_recursion, 0
	.set _ZN9rocsparseL16ell2dense_kernelILi16ELi64ElDF16_EEv21rocsparse_index_base_T1_S2_S2_PKT2_PKS2_PS3_l16rocsparse_order_.has_indirect_call, 0
	.section	.AMDGPU.csdata,"",@progbits
; Kernel info:
; codeLenInByte = 396
; TotalNumSgprs: 18
; NumVgprs: 11
; ScratchSize: 0
; MemoryBound: 0
; FloatMode: 240
; IeeeMode: 1
; LDSByteSize: 0 bytes/workgroup (compile time only)
; SGPRBlocks: 0
; VGPRBlocks: 0
; NumSGPRsForWavesPerEU: 18
; NumVGPRsForWavesPerEU: 11
; NamedBarCnt: 0
; Occupancy: 16
; WaveLimiterHint : 1
; COMPUTE_PGM_RSRC2:SCRATCH_EN: 0
; COMPUTE_PGM_RSRC2:USER_SGPR: 2
; COMPUTE_PGM_RSRC2:TRAP_HANDLER: 0
; COMPUTE_PGM_RSRC2:TGID_X_EN: 1
; COMPUTE_PGM_RSRC2:TGID_Y_EN: 0
; COMPUTE_PGM_RSRC2:TGID_Z_EN: 0
; COMPUTE_PGM_RSRC2:TIDIG_COMP_CNT: 0
	.section	.text._ZN9rocsparseL16ell2dense_kernelILi16ELi32ElfEEv21rocsparse_index_base_T1_S2_S2_PKT2_PKS2_PS3_l16rocsparse_order_,"axG",@progbits,_ZN9rocsparseL16ell2dense_kernelILi16ELi32ElfEEv21rocsparse_index_base_T1_S2_S2_PKT2_PKS2_PS3_l16rocsparse_order_,comdat
	.globl	_ZN9rocsparseL16ell2dense_kernelILi16ELi32ElfEEv21rocsparse_index_base_T1_S2_S2_PKT2_PKS2_PS3_l16rocsparse_order_ ; -- Begin function _ZN9rocsparseL16ell2dense_kernelILi16ELi32ElfEEv21rocsparse_index_base_T1_S2_S2_PKT2_PKS2_PS3_l16rocsparse_order_
	.p2align	8
	.type	_ZN9rocsparseL16ell2dense_kernelILi16ELi32ElfEEv21rocsparse_index_base_T1_S2_S2_PKT2_PKS2_PS3_l16rocsparse_order_,@function
_ZN9rocsparseL16ell2dense_kernelILi16ELi32ElfEEv21rocsparse_index_base_T1_S2_S2_PKT2_PKS2_PS3_l16rocsparse_order_: ; @_ZN9rocsparseL16ell2dense_kernelILi16ELi32ElfEEv21rocsparse_index_base_T1_S2_S2_PKT2_PKS2_PS3_l16rocsparse_order_
; %bb.0:
	s_load_b64 s[2:3], s[0:1], 0x18
	s_bfe_u32 s4, ttmp6, 0x4000c
	s_and_b32 s5, ttmp6, 15
	s_add_co_i32 s4, s4, 1
	s_getreg_b32 s6, hwreg(HW_REG_IB_STS2, 6, 4)
	s_mul_i32 s4, ttmp9, s4
	v_dual_mov_b32 v1, 0 :: v_dual_lshrrev_b32 v2, 5, v0
	s_add_co_i32 s5, s5, s4
	s_cmp_eq_u32 s6, 0
	s_cselect_b32 s4, ttmp9, s5
	s_delay_alu instid0(VALU_DEP_1) | instskip(SKIP_2) | instid1(VALU_DEP_1)
	v_mov_b32_e32 v3, v1
	v_lshl_or_b32 v2, s4, 4, v2
	s_wait_kmcnt 0x0
	v_cmp_gt_i64_e32 vcc_lo, s[2:3], v[2:3]
	s_and_saveexec_b32 s2, vcc_lo
	s_cbranch_execz .LBB12_6
; %bb.1:
	s_load_b128 s[12:15], s[0:1], 0x8
	v_and_b32_e32 v0, 31, v0
	s_wait_kmcnt 0x0
	s_delay_alu instid0(VALU_DEP_1)
	v_cmp_gt_i64_e32 vcc_lo, s[12:13], v[0:1]
	s_and_b32 exec_lo, exec_lo, vcc_lo
	s_cbranch_execz .LBB12_6
; %bb.2:
	v_mad_nc_u64_u32 v[4:5], s12, v2, v[0:1]
	s_clause 0x2
	s_load_b32 s3, s[0:1], 0x40
	s_load_b256 s[4:11], s[0:1], 0x20
	s_load_b32 s2, s[0:1], 0x0
	s_delay_alu instid0(VALU_DEP_1) | instskip(SKIP_4) | instid1(VALU_DEP_1)
	v_mad_u32 v5, s13, v2, v5
	s_wait_kmcnt 0x0
	s_cmp_eq_u32 s3, 1
	s_mov_b32 s3, 0
	s_cselect_b32 vcc_lo, -1, 0
	v_lshl_add_u64 v[2:3], v[4:5], 3, s[6:7]
	v_lshl_add_u64 v[4:5], v[4:5], 2, s[4:5]
	s_mov_b32 s4, s3
	s_branch .LBB12_4
.LBB12_3:                               ;   in Loop: Header=BB12_4 Depth=1
	s_wait_xcnt 0x0
	s_or_b32 exec_lo, exec_lo, s0
	v_add_nc_u64_e32 v[0:1], 32, v[0:1]
	v_add_nc_u64_e32 v[2:3], 0x100, v[2:3]
	;; [unrolled: 1-line block ×3, first 2 shown]
	s_delay_alu instid0(VALU_DEP_3) | instskip(SKIP_1) | instid1(SALU_CYCLE_1)
	v_cmp_le_i64_e64 s0, s[12:13], v[0:1]
	s_or_b32 s4, s0, s4
	s_and_not1_b32 exec_lo, exec_lo, s4
	s_cbranch_execz .LBB12_6
.LBB12_4:                               ; =>This Inner Loop Header: Depth=1
	global_load_b64 v[6:7], v[2:3], off
	s_wait_loadcnt 0x0
	v_sub_nc_u64_e64 v[6:7], v[6:7], s[2:3]
	s_delay_alu instid0(VALU_DEP_1)
	v_cmp_lt_i64_e64 s0, -1, v[6:7]
	v_cmp_gt_i64_e64 s1, s[14:15], v[6:7]
	s_and_b32 s1, s0, s1
	s_wait_xcnt 0x0
	s_and_saveexec_b32 s0, s1
	s_cbranch_execz .LBB12_3
; %bb.5:                                ;   in Loop: Header=BB12_4 Depth=1
	global_load_b32 v10, v[4:5], off
	v_dual_cndmask_b32 v9, v1, v7 :: v_dual_cndmask_b32 v8, v0, v6
	v_dual_cndmask_b32 v7, v7, v1 :: v_dual_cndmask_b32 v6, v6, v0
	s_delay_alu instid0(VALU_DEP_2) | instskip(NEXT) | instid1(VALU_DEP_1)
	v_mul_u64_e32 v[8:9], s[10:11], v[8:9]
	v_lshl_add_u64 v[8:9], v[8:9], 2, s[8:9]
	s_delay_alu instid0(VALU_DEP_1)
	v_lshl_add_u64 v[6:7], v[6:7], 2, v[8:9]
	s_wait_loadcnt 0x0
	global_store_b32 v[6:7], v10, off
	s_branch .LBB12_3
.LBB12_6:
	s_endpgm
	.section	.rodata,"a",@progbits
	.p2align	6, 0x0
	.amdhsa_kernel _ZN9rocsparseL16ell2dense_kernelILi16ELi32ElfEEv21rocsparse_index_base_T1_S2_S2_PKT2_PKS2_PS3_l16rocsparse_order_
		.amdhsa_group_segment_fixed_size 0
		.amdhsa_private_segment_fixed_size 0
		.amdhsa_kernarg_size 68
		.amdhsa_user_sgpr_count 2
		.amdhsa_user_sgpr_dispatch_ptr 0
		.amdhsa_user_sgpr_queue_ptr 0
		.amdhsa_user_sgpr_kernarg_segment_ptr 1
		.amdhsa_user_sgpr_dispatch_id 0
		.amdhsa_user_sgpr_kernarg_preload_length 0
		.amdhsa_user_sgpr_kernarg_preload_offset 0
		.amdhsa_user_sgpr_private_segment_size 0
		.amdhsa_wavefront_size32 1
		.amdhsa_uses_dynamic_stack 0
		.amdhsa_enable_private_segment 0
		.amdhsa_system_sgpr_workgroup_id_x 1
		.amdhsa_system_sgpr_workgroup_id_y 0
		.amdhsa_system_sgpr_workgroup_id_z 0
		.amdhsa_system_sgpr_workgroup_info 0
		.amdhsa_system_vgpr_workitem_id 0
		.amdhsa_next_free_vgpr 11
		.amdhsa_next_free_sgpr 16
		.amdhsa_named_barrier_count 0
		.amdhsa_reserve_vcc 1
		.amdhsa_float_round_mode_32 0
		.amdhsa_float_round_mode_16_64 0
		.amdhsa_float_denorm_mode_32 3
		.amdhsa_float_denorm_mode_16_64 3
		.amdhsa_fp16_overflow 0
		.amdhsa_memory_ordered 1
		.amdhsa_forward_progress 1
		.amdhsa_inst_pref_size 4
		.amdhsa_round_robin_scheduling 0
		.amdhsa_exception_fp_ieee_invalid_op 0
		.amdhsa_exception_fp_denorm_src 0
		.amdhsa_exception_fp_ieee_div_zero 0
		.amdhsa_exception_fp_ieee_overflow 0
		.amdhsa_exception_fp_ieee_underflow 0
		.amdhsa_exception_fp_ieee_inexact 0
		.amdhsa_exception_int_div_zero 0
	.end_amdhsa_kernel
	.section	.text._ZN9rocsparseL16ell2dense_kernelILi16ELi32ElfEEv21rocsparse_index_base_T1_S2_S2_PKT2_PKS2_PS3_l16rocsparse_order_,"axG",@progbits,_ZN9rocsparseL16ell2dense_kernelILi16ELi32ElfEEv21rocsparse_index_base_T1_S2_S2_PKT2_PKS2_PS3_l16rocsparse_order_,comdat
.Lfunc_end12:
	.size	_ZN9rocsparseL16ell2dense_kernelILi16ELi32ElfEEv21rocsparse_index_base_T1_S2_S2_PKT2_PKS2_PS3_l16rocsparse_order_, .Lfunc_end12-_ZN9rocsparseL16ell2dense_kernelILi16ELi32ElfEEv21rocsparse_index_base_T1_S2_S2_PKT2_PKS2_PS3_l16rocsparse_order_
                                        ; -- End function
	.set _ZN9rocsparseL16ell2dense_kernelILi16ELi32ElfEEv21rocsparse_index_base_T1_S2_S2_PKT2_PKS2_PS3_l16rocsparse_order_.num_vgpr, 11
	.set _ZN9rocsparseL16ell2dense_kernelILi16ELi32ElfEEv21rocsparse_index_base_T1_S2_S2_PKT2_PKS2_PS3_l16rocsparse_order_.num_agpr, 0
	.set _ZN9rocsparseL16ell2dense_kernelILi16ELi32ElfEEv21rocsparse_index_base_T1_S2_S2_PKT2_PKS2_PS3_l16rocsparse_order_.numbered_sgpr, 16
	.set _ZN9rocsparseL16ell2dense_kernelILi16ELi32ElfEEv21rocsparse_index_base_T1_S2_S2_PKT2_PKS2_PS3_l16rocsparse_order_.num_named_barrier, 0
	.set _ZN9rocsparseL16ell2dense_kernelILi16ELi32ElfEEv21rocsparse_index_base_T1_S2_S2_PKT2_PKS2_PS3_l16rocsparse_order_.private_seg_size, 0
	.set _ZN9rocsparseL16ell2dense_kernelILi16ELi32ElfEEv21rocsparse_index_base_T1_S2_S2_PKT2_PKS2_PS3_l16rocsparse_order_.uses_vcc, 1
	.set _ZN9rocsparseL16ell2dense_kernelILi16ELi32ElfEEv21rocsparse_index_base_T1_S2_S2_PKT2_PKS2_PS3_l16rocsparse_order_.uses_flat_scratch, 0
	.set _ZN9rocsparseL16ell2dense_kernelILi16ELi32ElfEEv21rocsparse_index_base_T1_S2_S2_PKT2_PKS2_PS3_l16rocsparse_order_.has_dyn_sized_stack, 0
	.set _ZN9rocsparseL16ell2dense_kernelILi16ELi32ElfEEv21rocsparse_index_base_T1_S2_S2_PKT2_PKS2_PS3_l16rocsparse_order_.has_recursion, 0
	.set _ZN9rocsparseL16ell2dense_kernelILi16ELi32ElfEEv21rocsparse_index_base_T1_S2_S2_PKT2_PKS2_PS3_l16rocsparse_order_.has_indirect_call, 0
	.section	.AMDGPU.csdata,"",@progbits
; Kernel info:
; codeLenInByte = 396
; TotalNumSgprs: 18
; NumVgprs: 11
; ScratchSize: 0
; MemoryBound: 0
; FloatMode: 240
; IeeeMode: 1
; LDSByteSize: 0 bytes/workgroup (compile time only)
; SGPRBlocks: 0
; VGPRBlocks: 0
; NumSGPRsForWavesPerEU: 18
; NumVGPRsForWavesPerEU: 11
; NamedBarCnt: 0
; Occupancy: 16
; WaveLimiterHint : 1
; COMPUTE_PGM_RSRC2:SCRATCH_EN: 0
; COMPUTE_PGM_RSRC2:USER_SGPR: 2
; COMPUTE_PGM_RSRC2:TRAP_HANDLER: 0
; COMPUTE_PGM_RSRC2:TGID_X_EN: 1
; COMPUTE_PGM_RSRC2:TGID_Y_EN: 0
; COMPUTE_PGM_RSRC2:TGID_Z_EN: 0
; COMPUTE_PGM_RSRC2:TIDIG_COMP_CNT: 0
	.section	.text._ZN9rocsparseL16ell2dense_kernelILi16ELi64ElfEEv21rocsparse_index_base_T1_S2_S2_PKT2_PKS2_PS3_l16rocsparse_order_,"axG",@progbits,_ZN9rocsparseL16ell2dense_kernelILi16ELi64ElfEEv21rocsparse_index_base_T1_S2_S2_PKT2_PKS2_PS3_l16rocsparse_order_,comdat
	.globl	_ZN9rocsparseL16ell2dense_kernelILi16ELi64ElfEEv21rocsparse_index_base_T1_S2_S2_PKT2_PKS2_PS3_l16rocsparse_order_ ; -- Begin function _ZN9rocsparseL16ell2dense_kernelILi16ELi64ElfEEv21rocsparse_index_base_T1_S2_S2_PKT2_PKS2_PS3_l16rocsparse_order_
	.p2align	8
	.type	_ZN9rocsparseL16ell2dense_kernelILi16ELi64ElfEEv21rocsparse_index_base_T1_S2_S2_PKT2_PKS2_PS3_l16rocsparse_order_,@function
_ZN9rocsparseL16ell2dense_kernelILi16ELi64ElfEEv21rocsparse_index_base_T1_S2_S2_PKT2_PKS2_PS3_l16rocsparse_order_: ; @_ZN9rocsparseL16ell2dense_kernelILi16ELi64ElfEEv21rocsparse_index_base_T1_S2_S2_PKT2_PKS2_PS3_l16rocsparse_order_
; %bb.0:
	s_load_b64 s[2:3], s[0:1], 0x18
	s_bfe_u32 s4, ttmp6, 0x4000c
	s_and_b32 s5, ttmp6, 15
	s_add_co_i32 s4, s4, 1
	s_getreg_b32 s6, hwreg(HW_REG_IB_STS2, 6, 4)
	s_mul_i32 s4, ttmp9, s4
	v_dual_mov_b32 v1, 0 :: v_dual_lshrrev_b32 v2, 6, v0
	s_add_co_i32 s5, s5, s4
	s_cmp_eq_u32 s6, 0
	s_cselect_b32 s4, ttmp9, s5
	s_delay_alu instid0(VALU_DEP_1) | instskip(SKIP_2) | instid1(VALU_DEP_1)
	v_mov_b32_e32 v3, v1
	v_lshl_or_b32 v2, s4, 4, v2
	s_wait_kmcnt 0x0
	v_cmp_gt_i64_e32 vcc_lo, s[2:3], v[2:3]
	s_and_saveexec_b32 s2, vcc_lo
	s_cbranch_execz .LBB13_6
; %bb.1:
	s_load_b128 s[12:15], s[0:1], 0x8
	v_and_b32_e32 v0, 63, v0
	s_wait_kmcnt 0x0
	s_delay_alu instid0(VALU_DEP_1)
	v_cmp_gt_i64_e32 vcc_lo, s[12:13], v[0:1]
	s_and_b32 exec_lo, exec_lo, vcc_lo
	s_cbranch_execz .LBB13_6
; %bb.2:
	v_mad_nc_u64_u32 v[4:5], s12, v2, v[0:1]
	s_clause 0x2
	s_load_b32 s3, s[0:1], 0x40
	s_load_b256 s[4:11], s[0:1], 0x20
	s_load_b32 s2, s[0:1], 0x0
	s_delay_alu instid0(VALU_DEP_1) | instskip(SKIP_4) | instid1(VALU_DEP_1)
	v_mad_u32 v5, s13, v2, v5
	s_wait_kmcnt 0x0
	s_cmp_eq_u32 s3, 1
	s_mov_b32 s3, 0
	s_cselect_b32 vcc_lo, -1, 0
	v_lshl_add_u64 v[2:3], v[4:5], 3, s[6:7]
	v_lshl_add_u64 v[4:5], v[4:5], 2, s[4:5]
	s_mov_b32 s4, s3
	s_branch .LBB13_4
.LBB13_3:                               ;   in Loop: Header=BB13_4 Depth=1
	s_wait_xcnt 0x0
	s_or_b32 exec_lo, exec_lo, s0
	v_add_nc_u64_e32 v[0:1], 64, v[0:1]
	v_add_nc_u64_e32 v[2:3], 0x200, v[2:3]
	;; [unrolled: 1-line block ×3, first 2 shown]
	s_delay_alu instid0(VALU_DEP_3) | instskip(SKIP_1) | instid1(SALU_CYCLE_1)
	v_cmp_le_i64_e64 s0, s[12:13], v[0:1]
	s_or_b32 s4, s0, s4
	s_and_not1_b32 exec_lo, exec_lo, s4
	s_cbranch_execz .LBB13_6
.LBB13_4:                               ; =>This Inner Loop Header: Depth=1
	global_load_b64 v[6:7], v[2:3], off
	s_wait_loadcnt 0x0
	v_sub_nc_u64_e64 v[6:7], v[6:7], s[2:3]
	s_delay_alu instid0(VALU_DEP_1)
	v_cmp_lt_i64_e64 s0, -1, v[6:7]
	v_cmp_gt_i64_e64 s1, s[14:15], v[6:7]
	s_and_b32 s1, s0, s1
	s_wait_xcnt 0x0
	s_and_saveexec_b32 s0, s1
	s_cbranch_execz .LBB13_3
; %bb.5:                                ;   in Loop: Header=BB13_4 Depth=1
	global_load_b32 v10, v[4:5], off
	v_dual_cndmask_b32 v9, v1, v7 :: v_dual_cndmask_b32 v8, v0, v6
	v_dual_cndmask_b32 v7, v7, v1 :: v_dual_cndmask_b32 v6, v6, v0
	s_delay_alu instid0(VALU_DEP_2) | instskip(NEXT) | instid1(VALU_DEP_1)
	v_mul_u64_e32 v[8:9], s[10:11], v[8:9]
	v_lshl_add_u64 v[8:9], v[8:9], 2, s[8:9]
	s_delay_alu instid0(VALU_DEP_1)
	v_lshl_add_u64 v[6:7], v[6:7], 2, v[8:9]
	s_wait_loadcnt 0x0
	global_store_b32 v[6:7], v10, off
	s_branch .LBB13_3
.LBB13_6:
	s_endpgm
	.section	.rodata,"a",@progbits
	.p2align	6, 0x0
	.amdhsa_kernel _ZN9rocsparseL16ell2dense_kernelILi16ELi64ElfEEv21rocsparse_index_base_T1_S2_S2_PKT2_PKS2_PS3_l16rocsparse_order_
		.amdhsa_group_segment_fixed_size 0
		.amdhsa_private_segment_fixed_size 0
		.amdhsa_kernarg_size 68
		.amdhsa_user_sgpr_count 2
		.amdhsa_user_sgpr_dispatch_ptr 0
		.amdhsa_user_sgpr_queue_ptr 0
		.amdhsa_user_sgpr_kernarg_segment_ptr 1
		.amdhsa_user_sgpr_dispatch_id 0
		.amdhsa_user_sgpr_kernarg_preload_length 0
		.amdhsa_user_sgpr_kernarg_preload_offset 0
		.amdhsa_user_sgpr_private_segment_size 0
		.amdhsa_wavefront_size32 1
		.amdhsa_uses_dynamic_stack 0
		.amdhsa_enable_private_segment 0
		.amdhsa_system_sgpr_workgroup_id_x 1
		.amdhsa_system_sgpr_workgroup_id_y 0
		.amdhsa_system_sgpr_workgroup_id_z 0
		.amdhsa_system_sgpr_workgroup_info 0
		.amdhsa_system_vgpr_workitem_id 0
		.amdhsa_next_free_vgpr 11
		.amdhsa_next_free_sgpr 16
		.amdhsa_named_barrier_count 0
		.amdhsa_reserve_vcc 1
		.amdhsa_float_round_mode_32 0
		.amdhsa_float_round_mode_16_64 0
		.amdhsa_float_denorm_mode_32 3
		.amdhsa_float_denorm_mode_16_64 3
		.amdhsa_fp16_overflow 0
		.amdhsa_memory_ordered 1
		.amdhsa_forward_progress 1
		.amdhsa_inst_pref_size 4
		.amdhsa_round_robin_scheduling 0
		.amdhsa_exception_fp_ieee_invalid_op 0
		.amdhsa_exception_fp_denorm_src 0
		.amdhsa_exception_fp_ieee_div_zero 0
		.amdhsa_exception_fp_ieee_overflow 0
		.amdhsa_exception_fp_ieee_underflow 0
		.amdhsa_exception_fp_ieee_inexact 0
		.amdhsa_exception_int_div_zero 0
	.end_amdhsa_kernel
	.section	.text._ZN9rocsparseL16ell2dense_kernelILi16ELi64ElfEEv21rocsparse_index_base_T1_S2_S2_PKT2_PKS2_PS3_l16rocsparse_order_,"axG",@progbits,_ZN9rocsparseL16ell2dense_kernelILi16ELi64ElfEEv21rocsparse_index_base_T1_S2_S2_PKT2_PKS2_PS3_l16rocsparse_order_,comdat
.Lfunc_end13:
	.size	_ZN9rocsparseL16ell2dense_kernelILi16ELi64ElfEEv21rocsparse_index_base_T1_S2_S2_PKT2_PKS2_PS3_l16rocsparse_order_, .Lfunc_end13-_ZN9rocsparseL16ell2dense_kernelILi16ELi64ElfEEv21rocsparse_index_base_T1_S2_S2_PKT2_PKS2_PS3_l16rocsparse_order_
                                        ; -- End function
	.set _ZN9rocsparseL16ell2dense_kernelILi16ELi64ElfEEv21rocsparse_index_base_T1_S2_S2_PKT2_PKS2_PS3_l16rocsparse_order_.num_vgpr, 11
	.set _ZN9rocsparseL16ell2dense_kernelILi16ELi64ElfEEv21rocsparse_index_base_T1_S2_S2_PKT2_PKS2_PS3_l16rocsparse_order_.num_agpr, 0
	.set _ZN9rocsparseL16ell2dense_kernelILi16ELi64ElfEEv21rocsparse_index_base_T1_S2_S2_PKT2_PKS2_PS3_l16rocsparse_order_.numbered_sgpr, 16
	.set _ZN9rocsparseL16ell2dense_kernelILi16ELi64ElfEEv21rocsparse_index_base_T1_S2_S2_PKT2_PKS2_PS3_l16rocsparse_order_.num_named_barrier, 0
	.set _ZN9rocsparseL16ell2dense_kernelILi16ELi64ElfEEv21rocsparse_index_base_T1_S2_S2_PKT2_PKS2_PS3_l16rocsparse_order_.private_seg_size, 0
	.set _ZN9rocsparseL16ell2dense_kernelILi16ELi64ElfEEv21rocsparse_index_base_T1_S2_S2_PKT2_PKS2_PS3_l16rocsparse_order_.uses_vcc, 1
	.set _ZN9rocsparseL16ell2dense_kernelILi16ELi64ElfEEv21rocsparse_index_base_T1_S2_S2_PKT2_PKS2_PS3_l16rocsparse_order_.uses_flat_scratch, 0
	.set _ZN9rocsparseL16ell2dense_kernelILi16ELi64ElfEEv21rocsparse_index_base_T1_S2_S2_PKT2_PKS2_PS3_l16rocsparse_order_.has_dyn_sized_stack, 0
	.set _ZN9rocsparseL16ell2dense_kernelILi16ELi64ElfEEv21rocsparse_index_base_T1_S2_S2_PKT2_PKS2_PS3_l16rocsparse_order_.has_recursion, 0
	.set _ZN9rocsparseL16ell2dense_kernelILi16ELi64ElfEEv21rocsparse_index_base_T1_S2_S2_PKT2_PKS2_PS3_l16rocsparse_order_.has_indirect_call, 0
	.section	.AMDGPU.csdata,"",@progbits
; Kernel info:
; codeLenInByte = 396
; TotalNumSgprs: 18
; NumVgprs: 11
; ScratchSize: 0
; MemoryBound: 0
; FloatMode: 240
; IeeeMode: 1
; LDSByteSize: 0 bytes/workgroup (compile time only)
; SGPRBlocks: 0
; VGPRBlocks: 0
; NumSGPRsForWavesPerEU: 18
; NumVGPRsForWavesPerEU: 11
; NamedBarCnt: 0
; Occupancy: 16
; WaveLimiterHint : 1
; COMPUTE_PGM_RSRC2:SCRATCH_EN: 0
; COMPUTE_PGM_RSRC2:USER_SGPR: 2
; COMPUTE_PGM_RSRC2:TRAP_HANDLER: 0
; COMPUTE_PGM_RSRC2:TGID_X_EN: 1
; COMPUTE_PGM_RSRC2:TGID_Y_EN: 0
; COMPUTE_PGM_RSRC2:TGID_Z_EN: 0
; COMPUTE_PGM_RSRC2:TIDIG_COMP_CNT: 0
	.section	.text._ZN9rocsparseL16ell2dense_kernelILi16ELi32EldEEv21rocsparse_index_base_T1_S2_S2_PKT2_PKS2_PS3_l16rocsparse_order_,"axG",@progbits,_ZN9rocsparseL16ell2dense_kernelILi16ELi32EldEEv21rocsparse_index_base_T1_S2_S2_PKT2_PKS2_PS3_l16rocsparse_order_,comdat
	.globl	_ZN9rocsparseL16ell2dense_kernelILi16ELi32EldEEv21rocsparse_index_base_T1_S2_S2_PKT2_PKS2_PS3_l16rocsparse_order_ ; -- Begin function _ZN9rocsparseL16ell2dense_kernelILi16ELi32EldEEv21rocsparse_index_base_T1_S2_S2_PKT2_PKS2_PS3_l16rocsparse_order_
	.p2align	8
	.type	_ZN9rocsparseL16ell2dense_kernelILi16ELi32EldEEv21rocsparse_index_base_T1_S2_S2_PKT2_PKS2_PS3_l16rocsparse_order_,@function
_ZN9rocsparseL16ell2dense_kernelILi16ELi32EldEEv21rocsparse_index_base_T1_S2_S2_PKT2_PKS2_PS3_l16rocsparse_order_: ; @_ZN9rocsparseL16ell2dense_kernelILi16ELi32EldEEv21rocsparse_index_base_T1_S2_S2_PKT2_PKS2_PS3_l16rocsparse_order_
; %bb.0:
	s_load_b64 s[2:3], s[0:1], 0x18
	s_bfe_u32 s4, ttmp6, 0x4000c
	s_and_b32 s5, ttmp6, 15
	s_add_co_i32 s4, s4, 1
	s_getreg_b32 s6, hwreg(HW_REG_IB_STS2, 6, 4)
	s_mul_i32 s4, ttmp9, s4
	v_dual_mov_b32 v1, 0 :: v_dual_lshrrev_b32 v2, 5, v0
	s_add_co_i32 s5, s5, s4
	s_cmp_eq_u32 s6, 0
	s_cselect_b32 s4, ttmp9, s5
	s_delay_alu instid0(VALU_DEP_1) | instskip(SKIP_2) | instid1(VALU_DEP_1)
	v_mov_b32_e32 v3, v1
	v_lshl_or_b32 v2, s4, 4, v2
	s_wait_kmcnt 0x0
	v_cmp_gt_i64_e32 vcc_lo, s[2:3], v[2:3]
	s_and_saveexec_b32 s2, vcc_lo
	s_cbranch_execz .LBB14_6
; %bb.1:
	s_load_b128 s[12:15], s[0:1], 0x8
	v_and_b32_e32 v0, 31, v0
	s_wait_kmcnt 0x0
	s_delay_alu instid0(VALU_DEP_1)
	v_cmp_gt_i64_e32 vcc_lo, s[12:13], v[0:1]
	s_and_b32 exec_lo, exec_lo, vcc_lo
	s_cbranch_execz .LBB14_6
; %bb.2:
	v_mad_nc_u64_u32 v[4:5], s12, v2, v[0:1]
	s_clause 0x2
	s_load_b256 s[4:11], s[0:1], 0x20
	s_load_b32 s3, s[0:1], 0x40
	s_load_b32 s2, s[0:1], 0x0
	s_delay_alu instid0(VALU_DEP_1) | instskip(SKIP_2) | instid1(VALU_DEP_1)
	v_mad_u32 v5, s13, v2, v5
	s_wait_kmcnt 0x0
	s_cmp_eq_u32 s3, 1
	v_lshlrev_b64_e32 v[4:5], 3, v[4:5]
	s_mov_b32 s3, 0
	s_cselect_b32 vcc_lo, -1, 0
	s_delay_alu instid0(VALU_DEP_1)
	v_add_nc_u64_e32 v[2:3], s[6:7], v[4:5]
	v_add_nc_u64_e32 v[4:5], s[4:5], v[4:5]
	s_mov_b32 s4, s3
	s_branch .LBB14_4
.LBB14_3:                               ;   in Loop: Header=BB14_4 Depth=1
	s_wait_xcnt 0x0
	s_or_b32 exec_lo, exec_lo, s0
	v_add_nc_u64_e32 v[0:1], 32, v[0:1]
	v_add_nc_u64_e32 v[2:3], 0x100, v[2:3]
	;; [unrolled: 1-line block ×3, first 2 shown]
	s_delay_alu instid0(VALU_DEP_3) | instskip(SKIP_1) | instid1(SALU_CYCLE_1)
	v_cmp_le_i64_e64 s0, s[12:13], v[0:1]
	s_or_b32 s4, s0, s4
	s_and_not1_b32 exec_lo, exec_lo, s4
	s_cbranch_execz .LBB14_6
.LBB14_4:                               ; =>This Inner Loop Header: Depth=1
	global_load_b64 v[6:7], v[2:3], off
	s_wait_loadcnt 0x0
	v_sub_nc_u64_e64 v[6:7], v[6:7], s[2:3]
	s_delay_alu instid0(VALU_DEP_1)
	v_cmp_lt_i64_e64 s0, -1, v[6:7]
	v_cmp_gt_i64_e64 s1, s[14:15], v[6:7]
	s_and_b32 s1, s0, s1
	s_wait_xcnt 0x0
	s_and_saveexec_b32 s0, s1
	s_cbranch_execz .LBB14_3
; %bb.5:                                ;   in Loop: Header=BB14_4 Depth=1
	global_load_b64 v[8:9], v[4:5], off
	v_dual_cndmask_b32 v11, v1, v7 :: v_dual_cndmask_b32 v10, v0, v6
	v_dual_cndmask_b32 v7, v7, v1 :: v_dual_cndmask_b32 v6, v6, v0
	s_delay_alu instid0(VALU_DEP_2) | instskip(NEXT) | instid1(VALU_DEP_1)
	v_mul_u64_e32 v[10:11], s[10:11], v[10:11]
	v_lshl_add_u64 v[10:11], v[10:11], 3, s[8:9]
	s_delay_alu instid0(VALU_DEP_1)
	v_lshl_add_u64 v[6:7], v[6:7], 3, v[10:11]
	s_wait_loadcnt 0x0
	global_store_b64 v[6:7], v[8:9], off
	s_branch .LBB14_3
.LBB14_6:
	s_endpgm
	.section	.rodata,"a",@progbits
	.p2align	6, 0x0
	.amdhsa_kernel _ZN9rocsparseL16ell2dense_kernelILi16ELi32EldEEv21rocsparse_index_base_T1_S2_S2_PKT2_PKS2_PS3_l16rocsparse_order_
		.amdhsa_group_segment_fixed_size 0
		.amdhsa_private_segment_fixed_size 0
		.amdhsa_kernarg_size 68
		.amdhsa_user_sgpr_count 2
		.amdhsa_user_sgpr_dispatch_ptr 0
		.amdhsa_user_sgpr_queue_ptr 0
		.amdhsa_user_sgpr_kernarg_segment_ptr 1
		.amdhsa_user_sgpr_dispatch_id 0
		.amdhsa_user_sgpr_kernarg_preload_length 0
		.amdhsa_user_sgpr_kernarg_preload_offset 0
		.amdhsa_user_sgpr_private_segment_size 0
		.amdhsa_wavefront_size32 1
		.amdhsa_uses_dynamic_stack 0
		.amdhsa_enable_private_segment 0
		.amdhsa_system_sgpr_workgroup_id_x 1
		.amdhsa_system_sgpr_workgroup_id_y 0
		.amdhsa_system_sgpr_workgroup_id_z 0
		.amdhsa_system_sgpr_workgroup_info 0
		.amdhsa_system_vgpr_workitem_id 0
		.amdhsa_next_free_vgpr 12
		.amdhsa_next_free_sgpr 16
		.amdhsa_named_barrier_count 0
		.amdhsa_reserve_vcc 1
		.amdhsa_float_round_mode_32 0
		.amdhsa_float_round_mode_16_64 0
		.amdhsa_float_denorm_mode_32 3
		.amdhsa_float_denorm_mode_16_64 3
		.amdhsa_fp16_overflow 0
		.amdhsa_memory_ordered 1
		.amdhsa_forward_progress 1
		.amdhsa_inst_pref_size 4
		.amdhsa_round_robin_scheduling 0
		.amdhsa_exception_fp_ieee_invalid_op 0
		.amdhsa_exception_fp_denorm_src 0
		.amdhsa_exception_fp_ieee_div_zero 0
		.amdhsa_exception_fp_ieee_overflow 0
		.amdhsa_exception_fp_ieee_underflow 0
		.amdhsa_exception_fp_ieee_inexact 0
		.amdhsa_exception_int_div_zero 0
	.end_amdhsa_kernel
	.section	.text._ZN9rocsparseL16ell2dense_kernelILi16ELi32EldEEv21rocsparse_index_base_T1_S2_S2_PKT2_PKS2_PS3_l16rocsparse_order_,"axG",@progbits,_ZN9rocsparseL16ell2dense_kernelILi16ELi32EldEEv21rocsparse_index_base_T1_S2_S2_PKT2_PKS2_PS3_l16rocsparse_order_,comdat
.Lfunc_end14:
	.size	_ZN9rocsparseL16ell2dense_kernelILi16ELi32EldEEv21rocsparse_index_base_T1_S2_S2_PKT2_PKS2_PS3_l16rocsparse_order_, .Lfunc_end14-_ZN9rocsparseL16ell2dense_kernelILi16ELi32EldEEv21rocsparse_index_base_T1_S2_S2_PKT2_PKS2_PS3_l16rocsparse_order_
                                        ; -- End function
	.set _ZN9rocsparseL16ell2dense_kernelILi16ELi32EldEEv21rocsparse_index_base_T1_S2_S2_PKT2_PKS2_PS3_l16rocsparse_order_.num_vgpr, 12
	.set _ZN9rocsparseL16ell2dense_kernelILi16ELi32EldEEv21rocsparse_index_base_T1_S2_S2_PKT2_PKS2_PS3_l16rocsparse_order_.num_agpr, 0
	.set _ZN9rocsparseL16ell2dense_kernelILi16ELi32EldEEv21rocsparse_index_base_T1_S2_S2_PKT2_PKS2_PS3_l16rocsparse_order_.numbered_sgpr, 16
	.set _ZN9rocsparseL16ell2dense_kernelILi16ELi32EldEEv21rocsparse_index_base_T1_S2_S2_PKT2_PKS2_PS3_l16rocsparse_order_.num_named_barrier, 0
	.set _ZN9rocsparseL16ell2dense_kernelILi16ELi32EldEEv21rocsparse_index_base_T1_S2_S2_PKT2_PKS2_PS3_l16rocsparse_order_.private_seg_size, 0
	.set _ZN9rocsparseL16ell2dense_kernelILi16ELi32EldEEv21rocsparse_index_base_T1_S2_S2_PKT2_PKS2_PS3_l16rocsparse_order_.uses_vcc, 1
	.set _ZN9rocsparseL16ell2dense_kernelILi16ELi32EldEEv21rocsparse_index_base_T1_S2_S2_PKT2_PKS2_PS3_l16rocsparse_order_.uses_flat_scratch, 0
	.set _ZN9rocsparseL16ell2dense_kernelILi16ELi32EldEEv21rocsparse_index_base_T1_S2_S2_PKT2_PKS2_PS3_l16rocsparse_order_.has_dyn_sized_stack, 0
	.set _ZN9rocsparseL16ell2dense_kernelILi16ELi32EldEEv21rocsparse_index_base_T1_S2_S2_PKT2_PKS2_PS3_l16rocsparse_order_.has_recursion, 0
	.set _ZN9rocsparseL16ell2dense_kernelILi16ELi32EldEEv21rocsparse_index_base_T1_S2_S2_PKT2_PKS2_PS3_l16rocsparse_order_.has_indirect_call, 0
	.section	.AMDGPU.csdata,"",@progbits
; Kernel info:
; codeLenInByte = 396
; TotalNumSgprs: 18
; NumVgprs: 12
; ScratchSize: 0
; MemoryBound: 0
; FloatMode: 240
; IeeeMode: 1
; LDSByteSize: 0 bytes/workgroup (compile time only)
; SGPRBlocks: 0
; VGPRBlocks: 0
; NumSGPRsForWavesPerEU: 18
; NumVGPRsForWavesPerEU: 12
; NamedBarCnt: 0
; Occupancy: 16
; WaveLimiterHint : 1
; COMPUTE_PGM_RSRC2:SCRATCH_EN: 0
; COMPUTE_PGM_RSRC2:USER_SGPR: 2
; COMPUTE_PGM_RSRC2:TRAP_HANDLER: 0
; COMPUTE_PGM_RSRC2:TGID_X_EN: 1
; COMPUTE_PGM_RSRC2:TGID_Y_EN: 0
; COMPUTE_PGM_RSRC2:TGID_Z_EN: 0
; COMPUTE_PGM_RSRC2:TIDIG_COMP_CNT: 0
	.section	.text._ZN9rocsparseL16ell2dense_kernelILi16ELi64EldEEv21rocsparse_index_base_T1_S2_S2_PKT2_PKS2_PS3_l16rocsparse_order_,"axG",@progbits,_ZN9rocsparseL16ell2dense_kernelILi16ELi64EldEEv21rocsparse_index_base_T1_S2_S2_PKT2_PKS2_PS3_l16rocsparse_order_,comdat
	.globl	_ZN9rocsparseL16ell2dense_kernelILi16ELi64EldEEv21rocsparse_index_base_T1_S2_S2_PKT2_PKS2_PS3_l16rocsparse_order_ ; -- Begin function _ZN9rocsparseL16ell2dense_kernelILi16ELi64EldEEv21rocsparse_index_base_T1_S2_S2_PKT2_PKS2_PS3_l16rocsparse_order_
	.p2align	8
	.type	_ZN9rocsparseL16ell2dense_kernelILi16ELi64EldEEv21rocsparse_index_base_T1_S2_S2_PKT2_PKS2_PS3_l16rocsparse_order_,@function
_ZN9rocsparseL16ell2dense_kernelILi16ELi64EldEEv21rocsparse_index_base_T1_S2_S2_PKT2_PKS2_PS3_l16rocsparse_order_: ; @_ZN9rocsparseL16ell2dense_kernelILi16ELi64EldEEv21rocsparse_index_base_T1_S2_S2_PKT2_PKS2_PS3_l16rocsparse_order_
; %bb.0:
	s_load_b64 s[2:3], s[0:1], 0x18
	s_bfe_u32 s4, ttmp6, 0x4000c
	s_and_b32 s5, ttmp6, 15
	s_add_co_i32 s4, s4, 1
	s_getreg_b32 s6, hwreg(HW_REG_IB_STS2, 6, 4)
	s_mul_i32 s4, ttmp9, s4
	v_dual_mov_b32 v1, 0 :: v_dual_lshrrev_b32 v2, 6, v0
	s_add_co_i32 s5, s5, s4
	s_cmp_eq_u32 s6, 0
	s_cselect_b32 s4, ttmp9, s5
	s_delay_alu instid0(VALU_DEP_1) | instskip(SKIP_2) | instid1(VALU_DEP_1)
	v_mov_b32_e32 v3, v1
	v_lshl_or_b32 v2, s4, 4, v2
	s_wait_kmcnt 0x0
	v_cmp_gt_i64_e32 vcc_lo, s[2:3], v[2:3]
	s_and_saveexec_b32 s2, vcc_lo
	s_cbranch_execz .LBB15_6
; %bb.1:
	s_load_b128 s[12:15], s[0:1], 0x8
	v_and_b32_e32 v0, 63, v0
	s_wait_kmcnt 0x0
	s_delay_alu instid0(VALU_DEP_1)
	v_cmp_gt_i64_e32 vcc_lo, s[12:13], v[0:1]
	s_and_b32 exec_lo, exec_lo, vcc_lo
	s_cbranch_execz .LBB15_6
; %bb.2:
	v_mad_nc_u64_u32 v[4:5], s12, v2, v[0:1]
	s_clause 0x2
	s_load_b256 s[4:11], s[0:1], 0x20
	s_load_b32 s3, s[0:1], 0x40
	s_load_b32 s2, s[0:1], 0x0
	s_delay_alu instid0(VALU_DEP_1) | instskip(SKIP_2) | instid1(VALU_DEP_1)
	v_mad_u32 v5, s13, v2, v5
	s_wait_kmcnt 0x0
	s_cmp_eq_u32 s3, 1
	v_lshlrev_b64_e32 v[4:5], 3, v[4:5]
	s_mov_b32 s3, 0
	s_cselect_b32 vcc_lo, -1, 0
	s_delay_alu instid0(VALU_DEP_1)
	v_add_nc_u64_e32 v[2:3], s[6:7], v[4:5]
	v_add_nc_u64_e32 v[4:5], s[4:5], v[4:5]
	s_mov_b32 s4, s3
	s_branch .LBB15_4
.LBB15_3:                               ;   in Loop: Header=BB15_4 Depth=1
	s_wait_xcnt 0x0
	s_or_b32 exec_lo, exec_lo, s0
	v_add_nc_u64_e32 v[0:1], 64, v[0:1]
	v_add_nc_u64_e32 v[2:3], 0x200, v[2:3]
	;; [unrolled: 1-line block ×3, first 2 shown]
	s_delay_alu instid0(VALU_DEP_3) | instskip(SKIP_1) | instid1(SALU_CYCLE_1)
	v_cmp_le_i64_e64 s0, s[12:13], v[0:1]
	s_or_b32 s4, s0, s4
	s_and_not1_b32 exec_lo, exec_lo, s4
	s_cbranch_execz .LBB15_6
.LBB15_4:                               ; =>This Inner Loop Header: Depth=1
	global_load_b64 v[6:7], v[2:3], off
	s_wait_loadcnt 0x0
	v_sub_nc_u64_e64 v[6:7], v[6:7], s[2:3]
	s_delay_alu instid0(VALU_DEP_1)
	v_cmp_lt_i64_e64 s0, -1, v[6:7]
	v_cmp_gt_i64_e64 s1, s[14:15], v[6:7]
	s_and_b32 s1, s0, s1
	s_wait_xcnt 0x0
	s_and_saveexec_b32 s0, s1
	s_cbranch_execz .LBB15_3
; %bb.5:                                ;   in Loop: Header=BB15_4 Depth=1
	global_load_b64 v[8:9], v[4:5], off
	v_dual_cndmask_b32 v11, v1, v7 :: v_dual_cndmask_b32 v10, v0, v6
	v_dual_cndmask_b32 v7, v7, v1 :: v_dual_cndmask_b32 v6, v6, v0
	s_delay_alu instid0(VALU_DEP_2) | instskip(NEXT) | instid1(VALU_DEP_1)
	v_mul_u64_e32 v[10:11], s[10:11], v[10:11]
	v_lshl_add_u64 v[10:11], v[10:11], 3, s[8:9]
	s_delay_alu instid0(VALU_DEP_1)
	v_lshl_add_u64 v[6:7], v[6:7], 3, v[10:11]
	s_wait_loadcnt 0x0
	global_store_b64 v[6:7], v[8:9], off
	s_branch .LBB15_3
.LBB15_6:
	s_endpgm
	.section	.rodata,"a",@progbits
	.p2align	6, 0x0
	.amdhsa_kernel _ZN9rocsparseL16ell2dense_kernelILi16ELi64EldEEv21rocsparse_index_base_T1_S2_S2_PKT2_PKS2_PS3_l16rocsparse_order_
		.amdhsa_group_segment_fixed_size 0
		.amdhsa_private_segment_fixed_size 0
		.amdhsa_kernarg_size 68
		.amdhsa_user_sgpr_count 2
		.amdhsa_user_sgpr_dispatch_ptr 0
		.amdhsa_user_sgpr_queue_ptr 0
		.amdhsa_user_sgpr_kernarg_segment_ptr 1
		.amdhsa_user_sgpr_dispatch_id 0
		.amdhsa_user_sgpr_kernarg_preload_length 0
		.amdhsa_user_sgpr_kernarg_preload_offset 0
		.amdhsa_user_sgpr_private_segment_size 0
		.amdhsa_wavefront_size32 1
		.amdhsa_uses_dynamic_stack 0
		.amdhsa_enable_private_segment 0
		.amdhsa_system_sgpr_workgroup_id_x 1
		.amdhsa_system_sgpr_workgroup_id_y 0
		.amdhsa_system_sgpr_workgroup_id_z 0
		.amdhsa_system_sgpr_workgroup_info 0
		.amdhsa_system_vgpr_workitem_id 0
		.amdhsa_next_free_vgpr 12
		.amdhsa_next_free_sgpr 16
		.amdhsa_named_barrier_count 0
		.amdhsa_reserve_vcc 1
		.amdhsa_float_round_mode_32 0
		.amdhsa_float_round_mode_16_64 0
		.amdhsa_float_denorm_mode_32 3
		.amdhsa_float_denorm_mode_16_64 3
		.amdhsa_fp16_overflow 0
		.amdhsa_memory_ordered 1
		.amdhsa_forward_progress 1
		.amdhsa_inst_pref_size 4
		.amdhsa_round_robin_scheduling 0
		.amdhsa_exception_fp_ieee_invalid_op 0
		.amdhsa_exception_fp_denorm_src 0
		.amdhsa_exception_fp_ieee_div_zero 0
		.amdhsa_exception_fp_ieee_overflow 0
		.amdhsa_exception_fp_ieee_underflow 0
		.amdhsa_exception_fp_ieee_inexact 0
		.amdhsa_exception_int_div_zero 0
	.end_amdhsa_kernel
	.section	.text._ZN9rocsparseL16ell2dense_kernelILi16ELi64EldEEv21rocsparse_index_base_T1_S2_S2_PKT2_PKS2_PS3_l16rocsparse_order_,"axG",@progbits,_ZN9rocsparseL16ell2dense_kernelILi16ELi64EldEEv21rocsparse_index_base_T1_S2_S2_PKT2_PKS2_PS3_l16rocsparse_order_,comdat
.Lfunc_end15:
	.size	_ZN9rocsparseL16ell2dense_kernelILi16ELi64EldEEv21rocsparse_index_base_T1_S2_S2_PKT2_PKS2_PS3_l16rocsparse_order_, .Lfunc_end15-_ZN9rocsparseL16ell2dense_kernelILi16ELi64EldEEv21rocsparse_index_base_T1_S2_S2_PKT2_PKS2_PS3_l16rocsparse_order_
                                        ; -- End function
	.set _ZN9rocsparseL16ell2dense_kernelILi16ELi64EldEEv21rocsparse_index_base_T1_S2_S2_PKT2_PKS2_PS3_l16rocsparse_order_.num_vgpr, 12
	.set _ZN9rocsparseL16ell2dense_kernelILi16ELi64EldEEv21rocsparse_index_base_T1_S2_S2_PKT2_PKS2_PS3_l16rocsparse_order_.num_agpr, 0
	.set _ZN9rocsparseL16ell2dense_kernelILi16ELi64EldEEv21rocsparse_index_base_T1_S2_S2_PKT2_PKS2_PS3_l16rocsparse_order_.numbered_sgpr, 16
	.set _ZN9rocsparseL16ell2dense_kernelILi16ELi64EldEEv21rocsparse_index_base_T1_S2_S2_PKT2_PKS2_PS3_l16rocsparse_order_.num_named_barrier, 0
	.set _ZN9rocsparseL16ell2dense_kernelILi16ELi64EldEEv21rocsparse_index_base_T1_S2_S2_PKT2_PKS2_PS3_l16rocsparse_order_.private_seg_size, 0
	.set _ZN9rocsparseL16ell2dense_kernelILi16ELi64EldEEv21rocsparse_index_base_T1_S2_S2_PKT2_PKS2_PS3_l16rocsparse_order_.uses_vcc, 1
	.set _ZN9rocsparseL16ell2dense_kernelILi16ELi64EldEEv21rocsparse_index_base_T1_S2_S2_PKT2_PKS2_PS3_l16rocsparse_order_.uses_flat_scratch, 0
	.set _ZN9rocsparseL16ell2dense_kernelILi16ELi64EldEEv21rocsparse_index_base_T1_S2_S2_PKT2_PKS2_PS3_l16rocsparse_order_.has_dyn_sized_stack, 0
	.set _ZN9rocsparseL16ell2dense_kernelILi16ELi64EldEEv21rocsparse_index_base_T1_S2_S2_PKT2_PKS2_PS3_l16rocsparse_order_.has_recursion, 0
	.set _ZN9rocsparseL16ell2dense_kernelILi16ELi64EldEEv21rocsparse_index_base_T1_S2_S2_PKT2_PKS2_PS3_l16rocsparse_order_.has_indirect_call, 0
	.section	.AMDGPU.csdata,"",@progbits
; Kernel info:
; codeLenInByte = 396
; TotalNumSgprs: 18
; NumVgprs: 12
; ScratchSize: 0
; MemoryBound: 0
; FloatMode: 240
; IeeeMode: 1
; LDSByteSize: 0 bytes/workgroup (compile time only)
; SGPRBlocks: 0
; VGPRBlocks: 0
; NumSGPRsForWavesPerEU: 18
; NumVGPRsForWavesPerEU: 12
; NamedBarCnt: 0
; Occupancy: 16
; WaveLimiterHint : 1
; COMPUTE_PGM_RSRC2:SCRATCH_EN: 0
; COMPUTE_PGM_RSRC2:USER_SGPR: 2
; COMPUTE_PGM_RSRC2:TRAP_HANDLER: 0
; COMPUTE_PGM_RSRC2:TGID_X_EN: 1
; COMPUTE_PGM_RSRC2:TGID_Y_EN: 0
; COMPUTE_PGM_RSRC2:TGID_Z_EN: 0
; COMPUTE_PGM_RSRC2:TIDIG_COMP_CNT: 0
	.section	.text._ZN9rocsparseL16ell2dense_kernelILi16ELi32El21rocsparse_complex_numIfEEEv21rocsparse_index_base_T1_S4_S4_PKT2_PKS4_PS5_l16rocsparse_order_,"axG",@progbits,_ZN9rocsparseL16ell2dense_kernelILi16ELi32El21rocsparse_complex_numIfEEEv21rocsparse_index_base_T1_S4_S4_PKT2_PKS4_PS5_l16rocsparse_order_,comdat
	.globl	_ZN9rocsparseL16ell2dense_kernelILi16ELi32El21rocsparse_complex_numIfEEEv21rocsparse_index_base_T1_S4_S4_PKT2_PKS4_PS5_l16rocsparse_order_ ; -- Begin function _ZN9rocsparseL16ell2dense_kernelILi16ELi32El21rocsparse_complex_numIfEEEv21rocsparse_index_base_T1_S4_S4_PKT2_PKS4_PS5_l16rocsparse_order_
	.p2align	8
	.type	_ZN9rocsparseL16ell2dense_kernelILi16ELi32El21rocsparse_complex_numIfEEEv21rocsparse_index_base_T1_S4_S4_PKT2_PKS4_PS5_l16rocsparse_order_,@function
_ZN9rocsparseL16ell2dense_kernelILi16ELi32El21rocsparse_complex_numIfEEEv21rocsparse_index_base_T1_S4_S4_PKT2_PKS4_PS5_l16rocsparse_order_: ; @_ZN9rocsparseL16ell2dense_kernelILi16ELi32El21rocsparse_complex_numIfEEEv21rocsparse_index_base_T1_S4_S4_PKT2_PKS4_PS5_l16rocsparse_order_
; %bb.0:
	s_load_b64 s[2:3], s[0:1], 0x18
	s_bfe_u32 s4, ttmp6, 0x4000c
	s_and_b32 s5, ttmp6, 15
	s_add_co_i32 s4, s4, 1
	s_getreg_b32 s6, hwreg(HW_REG_IB_STS2, 6, 4)
	s_mul_i32 s4, ttmp9, s4
	v_dual_mov_b32 v1, 0 :: v_dual_lshrrev_b32 v2, 5, v0
	s_add_co_i32 s5, s5, s4
	s_cmp_eq_u32 s6, 0
	s_cselect_b32 s4, ttmp9, s5
	s_delay_alu instid0(VALU_DEP_1) | instskip(SKIP_2) | instid1(VALU_DEP_1)
	v_mov_b32_e32 v3, v1
	v_lshl_or_b32 v2, s4, 4, v2
	s_wait_kmcnt 0x0
	v_cmp_gt_i64_e32 vcc_lo, s[2:3], v[2:3]
	s_and_saveexec_b32 s2, vcc_lo
	s_cbranch_execz .LBB16_6
; %bb.1:
	s_load_b128 s[12:15], s[0:1], 0x8
	v_and_b32_e32 v0, 31, v0
	s_wait_kmcnt 0x0
	s_delay_alu instid0(VALU_DEP_1)
	v_cmp_gt_i64_e32 vcc_lo, s[12:13], v[0:1]
	s_and_b32 exec_lo, exec_lo, vcc_lo
	s_cbranch_execz .LBB16_6
; %bb.2:
	v_mad_nc_u64_u32 v[4:5], s12, v2, v[0:1]
	s_clause 0x2
	s_load_b256 s[4:11], s[0:1], 0x20
	s_load_b32 s3, s[0:1], 0x40
	s_load_b32 s2, s[0:1], 0x0
	s_delay_alu instid0(VALU_DEP_1) | instskip(SKIP_2) | instid1(VALU_DEP_1)
	v_mad_u32 v5, s13, v2, v5
	s_wait_kmcnt 0x0
	s_cmp_eq_u32 s3, 1
	v_lshlrev_b64_e32 v[4:5], 3, v[4:5]
	s_mov_b32 s3, 0
	s_cselect_b32 vcc_lo, -1, 0
	s_delay_alu instid0(VALU_DEP_1)
	v_add_nc_u64_e32 v[2:3], s[6:7], v[4:5]
	v_add_nc_u64_e32 v[4:5], s[4:5], v[4:5]
	s_mov_b32 s4, s3
	s_branch .LBB16_4
.LBB16_3:                               ;   in Loop: Header=BB16_4 Depth=1
	s_wait_xcnt 0x0
	s_or_b32 exec_lo, exec_lo, s0
	v_add_nc_u64_e32 v[0:1], 32, v[0:1]
	v_add_nc_u64_e32 v[2:3], 0x100, v[2:3]
	;; [unrolled: 1-line block ×3, first 2 shown]
	s_delay_alu instid0(VALU_DEP_3) | instskip(SKIP_1) | instid1(SALU_CYCLE_1)
	v_cmp_le_i64_e64 s0, s[12:13], v[0:1]
	s_or_b32 s4, s0, s4
	s_and_not1_b32 exec_lo, exec_lo, s4
	s_cbranch_execz .LBB16_6
.LBB16_4:                               ; =>This Inner Loop Header: Depth=1
	global_load_b64 v[6:7], v[2:3], off
	s_wait_loadcnt 0x0
	v_sub_nc_u64_e64 v[6:7], v[6:7], s[2:3]
	s_delay_alu instid0(VALU_DEP_1)
	v_cmp_lt_i64_e64 s0, -1, v[6:7]
	v_cmp_gt_i64_e64 s1, s[14:15], v[6:7]
	s_and_b32 s1, s0, s1
	s_wait_xcnt 0x0
	s_and_saveexec_b32 s0, s1
	s_cbranch_execz .LBB16_3
; %bb.5:                                ;   in Loop: Header=BB16_4 Depth=1
	global_load_b64 v[8:9], v[4:5], off
	v_dual_cndmask_b32 v11, v1, v7 :: v_dual_cndmask_b32 v10, v0, v6
	v_dual_cndmask_b32 v7, v7, v1 :: v_dual_cndmask_b32 v6, v6, v0
	s_delay_alu instid0(VALU_DEP_2) | instskip(NEXT) | instid1(VALU_DEP_1)
	v_mul_u64_e32 v[10:11], s[10:11], v[10:11]
	v_lshl_add_u64 v[10:11], v[10:11], 3, s[8:9]
	s_delay_alu instid0(VALU_DEP_1)
	v_lshl_add_u64 v[6:7], v[6:7], 3, v[10:11]
	s_wait_loadcnt 0x0
	global_store_b64 v[6:7], v[8:9], off
	s_branch .LBB16_3
.LBB16_6:
	s_endpgm
	.section	.rodata,"a",@progbits
	.p2align	6, 0x0
	.amdhsa_kernel _ZN9rocsparseL16ell2dense_kernelILi16ELi32El21rocsparse_complex_numIfEEEv21rocsparse_index_base_T1_S4_S4_PKT2_PKS4_PS5_l16rocsparse_order_
		.amdhsa_group_segment_fixed_size 0
		.amdhsa_private_segment_fixed_size 0
		.amdhsa_kernarg_size 68
		.amdhsa_user_sgpr_count 2
		.amdhsa_user_sgpr_dispatch_ptr 0
		.amdhsa_user_sgpr_queue_ptr 0
		.amdhsa_user_sgpr_kernarg_segment_ptr 1
		.amdhsa_user_sgpr_dispatch_id 0
		.amdhsa_user_sgpr_kernarg_preload_length 0
		.amdhsa_user_sgpr_kernarg_preload_offset 0
		.amdhsa_user_sgpr_private_segment_size 0
		.amdhsa_wavefront_size32 1
		.amdhsa_uses_dynamic_stack 0
		.amdhsa_enable_private_segment 0
		.amdhsa_system_sgpr_workgroup_id_x 1
		.amdhsa_system_sgpr_workgroup_id_y 0
		.amdhsa_system_sgpr_workgroup_id_z 0
		.amdhsa_system_sgpr_workgroup_info 0
		.amdhsa_system_vgpr_workitem_id 0
		.amdhsa_next_free_vgpr 12
		.amdhsa_next_free_sgpr 16
		.amdhsa_named_barrier_count 0
		.amdhsa_reserve_vcc 1
		.amdhsa_float_round_mode_32 0
		.amdhsa_float_round_mode_16_64 0
		.amdhsa_float_denorm_mode_32 3
		.amdhsa_float_denorm_mode_16_64 3
		.amdhsa_fp16_overflow 0
		.amdhsa_memory_ordered 1
		.amdhsa_forward_progress 1
		.amdhsa_inst_pref_size 4
		.amdhsa_round_robin_scheduling 0
		.amdhsa_exception_fp_ieee_invalid_op 0
		.amdhsa_exception_fp_denorm_src 0
		.amdhsa_exception_fp_ieee_div_zero 0
		.amdhsa_exception_fp_ieee_overflow 0
		.amdhsa_exception_fp_ieee_underflow 0
		.amdhsa_exception_fp_ieee_inexact 0
		.amdhsa_exception_int_div_zero 0
	.end_amdhsa_kernel
	.section	.text._ZN9rocsparseL16ell2dense_kernelILi16ELi32El21rocsparse_complex_numIfEEEv21rocsparse_index_base_T1_S4_S4_PKT2_PKS4_PS5_l16rocsparse_order_,"axG",@progbits,_ZN9rocsparseL16ell2dense_kernelILi16ELi32El21rocsparse_complex_numIfEEEv21rocsparse_index_base_T1_S4_S4_PKT2_PKS4_PS5_l16rocsparse_order_,comdat
.Lfunc_end16:
	.size	_ZN9rocsparseL16ell2dense_kernelILi16ELi32El21rocsparse_complex_numIfEEEv21rocsparse_index_base_T1_S4_S4_PKT2_PKS4_PS5_l16rocsparse_order_, .Lfunc_end16-_ZN9rocsparseL16ell2dense_kernelILi16ELi32El21rocsparse_complex_numIfEEEv21rocsparse_index_base_T1_S4_S4_PKT2_PKS4_PS5_l16rocsparse_order_
                                        ; -- End function
	.set _ZN9rocsparseL16ell2dense_kernelILi16ELi32El21rocsparse_complex_numIfEEEv21rocsparse_index_base_T1_S4_S4_PKT2_PKS4_PS5_l16rocsparse_order_.num_vgpr, 12
	.set _ZN9rocsparseL16ell2dense_kernelILi16ELi32El21rocsparse_complex_numIfEEEv21rocsparse_index_base_T1_S4_S4_PKT2_PKS4_PS5_l16rocsparse_order_.num_agpr, 0
	.set _ZN9rocsparseL16ell2dense_kernelILi16ELi32El21rocsparse_complex_numIfEEEv21rocsparse_index_base_T1_S4_S4_PKT2_PKS4_PS5_l16rocsparse_order_.numbered_sgpr, 16
	.set _ZN9rocsparseL16ell2dense_kernelILi16ELi32El21rocsparse_complex_numIfEEEv21rocsparse_index_base_T1_S4_S4_PKT2_PKS4_PS5_l16rocsparse_order_.num_named_barrier, 0
	.set _ZN9rocsparseL16ell2dense_kernelILi16ELi32El21rocsparse_complex_numIfEEEv21rocsparse_index_base_T1_S4_S4_PKT2_PKS4_PS5_l16rocsparse_order_.private_seg_size, 0
	.set _ZN9rocsparseL16ell2dense_kernelILi16ELi32El21rocsparse_complex_numIfEEEv21rocsparse_index_base_T1_S4_S4_PKT2_PKS4_PS5_l16rocsparse_order_.uses_vcc, 1
	.set _ZN9rocsparseL16ell2dense_kernelILi16ELi32El21rocsparse_complex_numIfEEEv21rocsparse_index_base_T1_S4_S4_PKT2_PKS4_PS5_l16rocsparse_order_.uses_flat_scratch, 0
	.set _ZN9rocsparseL16ell2dense_kernelILi16ELi32El21rocsparse_complex_numIfEEEv21rocsparse_index_base_T1_S4_S4_PKT2_PKS4_PS5_l16rocsparse_order_.has_dyn_sized_stack, 0
	.set _ZN9rocsparseL16ell2dense_kernelILi16ELi32El21rocsparse_complex_numIfEEEv21rocsparse_index_base_T1_S4_S4_PKT2_PKS4_PS5_l16rocsparse_order_.has_recursion, 0
	.set _ZN9rocsparseL16ell2dense_kernelILi16ELi32El21rocsparse_complex_numIfEEEv21rocsparse_index_base_T1_S4_S4_PKT2_PKS4_PS5_l16rocsparse_order_.has_indirect_call, 0
	.section	.AMDGPU.csdata,"",@progbits
; Kernel info:
; codeLenInByte = 396
; TotalNumSgprs: 18
; NumVgprs: 12
; ScratchSize: 0
; MemoryBound: 0
; FloatMode: 240
; IeeeMode: 1
; LDSByteSize: 0 bytes/workgroup (compile time only)
; SGPRBlocks: 0
; VGPRBlocks: 0
; NumSGPRsForWavesPerEU: 18
; NumVGPRsForWavesPerEU: 12
; NamedBarCnt: 0
; Occupancy: 16
; WaveLimiterHint : 1
; COMPUTE_PGM_RSRC2:SCRATCH_EN: 0
; COMPUTE_PGM_RSRC2:USER_SGPR: 2
; COMPUTE_PGM_RSRC2:TRAP_HANDLER: 0
; COMPUTE_PGM_RSRC2:TGID_X_EN: 1
; COMPUTE_PGM_RSRC2:TGID_Y_EN: 0
; COMPUTE_PGM_RSRC2:TGID_Z_EN: 0
; COMPUTE_PGM_RSRC2:TIDIG_COMP_CNT: 0
	.section	.text._ZN9rocsparseL16ell2dense_kernelILi16ELi64El21rocsparse_complex_numIfEEEv21rocsparse_index_base_T1_S4_S4_PKT2_PKS4_PS5_l16rocsparse_order_,"axG",@progbits,_ZN9rocsparseL16ell2dense_kernelILi16ELi64El21rocsparse_complex_numIfEEEv21rocsparse_index_base_T1_S4_S4_PKT2_PKS4_PS5_l16rocsparse_order_,comdat
	.globl	_ZN9rocsparseL16ell2dense_kernelILi16ELi64El21rocsparse_complex_numIfEEEv21rocsparse_index_base_T1_S4_S4_PKT2_PKS4_PS5_l16rocsparse_order_ ; -- Begin function _ZN9rocsparseL16ell2dense_kernelILi16ELi64El21rocsparse_complex_numIfEEEv21rocsparse_index_base_T1_S4_S4_PKT2_PKS4_PS5_l16rocsparse_order_
	.p2align	8
	.type	_ZN9rocsparseL16ell2dense_kernelILi16ELi64El21rocsparse_complex_numIfEEEv21rocsparse_index_base_T1_S4_S4_PKT2_PKS4_PS5_l16rocsparse_order_,@function
_ZN9rocsparseL16ell2dense_kernelILi16ELi64El21rocsparse_complex_numIfEEEv21rocsparse_index_base_T1_S4_S4_PKT2_PKS4_PS5_l16rocsparse_order_: ; @_ZN9rocsparseL16ell2dense_kernelILi16ELi64El21rocsparse_complex_numIfEEEv21rocsparse_index_base_T1_S4_S4_PKT2_PKS4_PS5_l16rocsparse_order_
; %bb.0:
	s_load_b64 s[2:3], s[0:1], 0x18
	s_bfe_u32 s4, ttmp6, 0x4000c
	s_and_b32 s5, ttmp6, 15
	s_add_co_i32 s4, s4, 1
	s_getreg_b32 s6, hwreg(HW_REG_IB_STS2, 6, 4)
	s_mul_i32 s4, ttmp9, s4
	v_dual_mov_b32 v1, 0 :: v_dual_lshrrev_b32 v2, 6, v0
	s_add_co_i32 s5, s5, s4
	s_cmp_eq_u32 s6, 0
	s_cselect_b32 s4, ttmp9, s5
	s_delay_alu instid0(VALU_DEP_1) | instskip(SKIP_2) | instid1(VALU_DEP_1)
	v_mov_b32_e32 v3, v1
	v_lshl_or_b32 v2, s4, 4, v2
	s_wait_kmcnt 0x0
	v_cmp_gt_i64_e32 vcc_lo, s[2:3], v[2:3]
	s_and_saveexec_b32 s2, vcc_lo
	s_cbranch_execz .LBB17_6
; %bb.1:
	s_load_b128 s[12:15], s[0:1], 0x8
	v_and_b32_e32 v0, 63, v0
	s_wait_kmcnt 0x0
	s_delay_alu instid0(VALU_DEP_1)
	v_cmp_gt_i64_e32 vcc_lo, s[12:13], v[0:1]
	s_and_b32 exec_lo, exec_lo, vcc_lo
	s_cbranch_execz .LBB17_6
; %bb.2:
	v_mad_nc_u64_u32 v[4:5], s12, v2, v[0:1]
	s_clause 0x2
	s_load_b256 s[4:11], s[0:1], 0x20
	s_load_b32 s3, s[0:1], 0x40
	s_load_b32 s2, s[0:1], 0x0
	s_delay_alu instid0(VALU_DEP_1) | instskip(SKIP_2) | instid1(VALU_DEP_1)
	v_mad_u32 v5, s13, v2, v5
	s_wait_kmcnt 0x0
	s_cmp_eq_u32 s3, 1
	v_lshlrev_b64_e32 v[4:5], 3, v[4:5]
	s_mov_b32 s3, 0
	s_cselect_b32 vcc_lo, -1, 0
	s_delay_alu instid0(VALU_DEP_1)
	v_add_nc_u64_e32 v[2:3], s[6:7], v[4:5]
	v_add_nc_u64_e32 v[4:5], s[4:5], v[4:5]
	s_mov_b32 s4, s3
	s_branch .LBB17_4
.LBB17_3:                               ;   in Loop: Header=BB17_4 Depth=1
	s_wait_xcnt 0x0
	s_or_b32 exec_lo, exec_lo, s0
	v_add_nc_u64_e32 v[0:1], 64, v[0:1]
	v_add_nc_u64_e32 v[2:3], 0x200, v[2:3]
	;; [unrolled: 1-line block ×3, first 2 shown]
	s_delay_alu instid0(VALU_DEP_3) | instskip(SKIP_1) | instid1(SALU_CYCLE_1)
	v_cmp_le_i64_e64 s0, s[12:13], v[0:1]
	s_or_b32 s4, s0, s4
	s_and_not1_b32 exec_lo, exec_lo, s4
	s_cbranch_execz .LBB17_6
.LBB17_4:                               ; =>This Inner Loop Header: Depth=1
	global_load_b64 v[6:7], v[2:3], off
	s_wait_loadcnt 0x0
	v_sub_nc_u64_e64 v[6:7], v[6:7], s[2:3]
	s_delay_alu instid0(VALU_DEP_1)
	v_cmp_lt_i64_e64 s0, -1, v[6:7]
	v_cmp_gt_i64_e64 s1, s[14:15], v[6:7]
	s_and_b32 s1, s0, s1
	s_wait_xcnt 0x0
	s_and_saveexec_b32 s0, s1
	s_cbranch_execz .LBB17_3
; %bb.5:                                ;   in Loop: Header=BB17_4 Depth=1
	global_load_b64 v[8:9], v[4:5], off
	v_dual_cndmask_b32 v11, v1, v7 :: v_dual_cndmask_b32 v10, v0, v6
	v_dual_cndmask_b32 v7, v7, v1 :: v_dual_cndmask_b32 v6, v6, v0
	s_delay_alu instid0(VALU_DEP_2) | instskip(NEXT) | instid1(VALU_DEP_1)
	v_mul_u64_e32 v[10:11], s[10:11], v[10:11]
	v_lshl_add_u64 v[10:11], v[10:11], 3, s[8:9]
	s_delay_alu instid0(VALU_DEP_1)
	v_lshl_add_u64 v[6:7], v[6:7], 3, v[10:11]
	s_wait_loadcnt 0x0
	global_store_b64 v[6:7], v[8:9], off
	s_branch .LBB17_3
.LBB17_6:
	s_endpgm
	.section	.rodata,"a",@progbits
	.p2align	6, 0x0
	.amdhsa_kernel _ZN9rocsparseL16ell2dense_kernelILi16ELi64El21rocsparse_complex_numIfEEEv21rocsparse_index_base_T1_S4_S4_PKT2_PKS4_PS5_l16rocsparse_order_
		.amdhsa_group_segment_fixed_size 0
		.amdhsa_private_segment_fixed_size 0
		.amdhsa_kernarg_size 68
		.amdhsa_user_sgpr_count 2
		.amdhsa_user_sgpr_dispatch_ptr 0
		.amdhsa_user_sgpr_queue_ptr 0
		.amdhsa_user_sgpr_kernarg_segment_ptr 1
		.amdhsa_user_sgpr_dispatch_id 0
		.amdhsa_user_sgpr_kernarg_preload_length 0
		.amdhsa_user_sgpr_kernarg_preload_offset 0
		.amdhsa_user_sgpr_private_segment_size 0
		.amdhsa_wavefront_size32 1
		.amdhsa_uses_dynamic_stack 0
		.amdhsa_enable_private_segment 0
		.amdhsa_system_sgpr_workgroup_id_x 1
		.amdhsa_system_sgpr_workgroup_id_y 0
		.amdhsa_system_sgpr_workgroup_id_z 0
		.amdhsa_system_sgpr_workgroup_info 0
		.amdhsa_system_vgpr_workitem_id 0
		.amdhsa_next_free_vgpr 12
		.amdhsa_next_free_sgpr 16
		.amdhsa_named_barrier_count 0
		.amdhsa_reserve_vcc 1
		.amdhsa_float_round_mode_32 0
		.amdhsa_float_round_mode_16_64 0
		.amdhsa_float_denorm_mode_32 3
		.amdhsa_float_denorm_mode_16_64 3
		.amdhsa_fp16_overflow 0
		.amdhsa_memory_ordered 1
		.amdhsa_forward_progress 1
		.amdhsa_inst_pref_size 4
		.amdhsa_round_robin_scheduling 0
		.amdhsa_exception_fp_ieee_invalid_op 0
		.amdhsa_exception_fp_denorm_src 0
		.amdhsa_exception_fp_ieee_div_zero 0
		.amdhsa_exception_fp_ieee_overflow 0
		.amdhsa_exception_fp_ieee_underflow 0
		.amdhsa_exception_fp_ieee_inexact 0
		.amdhsa_exception_int_div_zero 0
	.end_amdhsa_kernel
	.section	.text._ZN9rocsparseL16ell2dense_kernelILi16ELi64El21rocsparse_complex_numIfEEEv21rocsparse_index_base_T1_S4_S4_PKT2_PKS4_PS5_l16rocsparse_order_,"axG",@progbits,_ZN9rocsparseL16ell2dense_kernelILi16ELi64El21rocsparse_complex_numIfEEEv21rocsparse_index_base_T1_S4_S4_PKT2_PKS4_PS5_l16rocsparse_order_,comdat
.Lfunc_end17:
	.size	_ZN9rocsparseL16ell2dense_kernelILi16ELi64El21rocsparse_complex_numIfEEEv21rocsparse_index_base_T1_S4_S4_PKT2_PKS4_PS5_l16rocsparse_order_, .Lfunc_end17-_ZN9rocsparseL16ell2dense_kernelILi16ELi64El21rocsparse_complex_numIfEEEv21rocsparse_index_base_T1_S4_S4_PKT2_PKS4_PS5_l16rocsparse_order_
                                        ; -- End function
	.set _ZN9rocsparseL16ell2dense_kernelILi16ELi64El21rocsparse_complex_numIfEEEv21rocsparse_index_base_T1_S4_S4_PKT2_PKS4_PS5_l16rocsparse_order_.num_vgpr, 12
	.set _ZN9rocsparseL16ell2dense_kernelILi16ELi64El21rocsparse_complex_numIfEEEv21rocsparse_index_base_T1_S4_S4_PKT2_PKS4_PS5_l16rocsparse_order_.num_agpr, 0
	.set _ZN9rocsparseL16ell2dense_kernelILi16ELi64El21rocsparse_complex_numIfEEEv21rocsparse_index_base_T1_S4_S4_PKT2_PKS4_PS5_l16rocsparse_order_.numbered_sgpr, 16
	.set _ZN9rocsparseL16ell2dense_kernelILi16ELi64El21rocsparse_complex_numIfEEEv21rocsparse_index_base_T1_S4_S4_PKT2_PKS4_PS5_l16rocsparse_order_.num_named_barrier, 0
	.set _ZN9rocsparseL16ell2dense_kernelILi16ELi64El21rocsparse_complex_numIfEEEv21rocsparse_index_base_T1_S4_S4_PKT2_PKS4_PS5_l16rocsparse_order_.private_seg_size, 0
	.set _ZN9rocsparseL16ell2dense_kernelILi16ELi64El21rocsparse_complex_numIfEEEv21rocsparse_index_base_T1_S4_S4_PKT2_PKS4_PS5_l16rocsparse_order_.uses_vcc, 1
	.set _ZN9rocsparseL16ell2dense_kernelILi16ELi64El21rocsparse_complex_numIfEEEv21rocsparse_index_base_T1_S4_S4_PKT2_PKS4_PS5_l16rocsparse_order_.uses_flat_scratch, 0
	.set _ZN9rocsparseL16ell2dense_kernelILi16ELi64El21rocsparse_complex_numIfEEEv21rocsparse_index_base_T1_S4_S4_PKT2_PKS4_PS5_l16rocsparse_order_.has_dyn_sized_stack, 0
	.set _ZN9rocsparseL16ell2dense_kernelILi16ELi64El21rocsparse_complex_numIfEEEv21rocsparse_index_base_T1_S4_S4_PKT2_PKS4_PS5_l16rocsparse_order_.has_recursion, 0
	.set _ZN9rocsparseL16ell2dense_kernelILi16ELi64El21rocsparse_complex_numIfEEEv21rocsparse_index_base_T1_S4_S4_PKT2_PKS4_PS5_l16rocsparse_order_.has_indirect_call, 0
	.section	.AMDGPU.csdata,"",@progbits
; Kernel info:
; codeLenInByte = 396
; TotalNumSgprs: 18
; NumVgprs: 12
; ScratchSize: 0
; MemoryBound: 0
; FloatMode: 240
; IeeeMode: 1
; LDSByteSize: 0 bytes/workgroup (compile time only)
; SGPRBlocks: 0
; VGPRBlocks: 0
; NumSGPRsForWavesPerEU: 18
; NumVGPRsForWavesPerEU: 12
; NamedBarCnt: 0
; Occupancy: 16
; WaveLimiterHint : 1
; COMPUTE_PGM_RSRC2:SCRATCH_EN: 0
; COMPUTE_PGM_RSRC2:USER_SGPR: 2
; COMPUTE_PGM_RSRC2:TRAP_HANDLER: 0
; COMPUTE_PGM_RSRC2:TGID_X_EN: 1
; COMPUTE_PGM_RSRC2:TGID_Y_EN: 0
; COMPUTE_PGM_RSRC2:TGID_Z_EN: 0
; COMPUTE_PGM_RSRC2:TIDIG_COMP_CNT: 0
	.section	.text._ZN9rocsparseL16ell2dense_kernelILi16ELi32El21rocsparse_complex_numIdEEEv21rocsparse_index_base_T1_S4_S4_PKT2_PKS4_PS5_l16rocsparse_order_,"axG",@progbits,_ZN9rocsparseL16ell2dense_kernelILi16ELi32El21rocsparse_complex_numIdEEEv21rocsparse_index_base_T1_S4_S4_PKT2_PKS4_PS5_l16rocsparse_order_,comdat
	.globl	_ZN9rocsparseL16ell2dense_kernelILi16ELi32El21rocsparse_complex_numIdEEEv21rocsparse_index_base_T1_S4_S4_PKT2_PKS4_PS5_l16rocsparse_order_ ; -- Begin function _ZN9rocsparseL16ell2dense_kernelILi16ELi32El21rocsparse_complex_numIdEEEv21rocsparse_index_base_T1_S4_S4_PKT2_PKS4_PS5_l16rocsparse_order_
	.p2align	8
	.type	_ZN9rocsparseL16ell2dense_kernelILi16ELi32El21rocsparse_complex_numIdEEEv21rocsparse_index_base_T1_S4_S4_PKT2_PKS4_PS5_l16rocsparse_order_,@function
_ZN9rocsparseL16ell2dense_kernelILi16ELi32El21rocsparse_complex_numIdEEEv21rocsparse_index_base_T1_S4_S4_PKT2_PKS4_PS5_l16rocsparse_order_: ; @_ZN9rocsparseL16ell2dense_kernelILi16ELi32El21rocsparse_complex_numIdEEEv21rocsparse_index_base_T1_S4_S4_PKT2_PKS4_PS5_l16rocsparse_order_
; %bb.0:
	s_load_b64 s[2:3], s[0:1], 0x18
	s_bfe_u32 s4, ttmp6, 0x4000c
	s_and_b32 s5, ttmp6, 15
	s_add_co_i32 s4, s4, 1
	s_getreg_b32 s6, hwreg(HW_REG_IB_STS2, 6, 4)
	s_mul_i32 s4, ttmp9, s4
	v_dual_mov_b32 v1, 0 :: v_dual_lshrrev_b32 v2, 5, v0
	s_add_co_i32 s5, s5, s4
	s_cmp_eq_u32 s6, 0
	s_cselect_b32 s4, ttmp9, s5
	s_delay_alu instid0(VALU_DEP_1) | instskip(SKIP_2) | instid1(VALU_DEP_1)
	v_mov_b32_e32 v3, v1
	v_lshl_or_b32 v2, s4, 4, v2
	s_wait_kmcnt 0x0
	v_cmp_gt_i64_e32 vcc_lo, s[2:3], v[2:3]
	s_and_saveexec_b32 s2, vcc_lo
	s_cbranch_execz .LBB18_6
; %bb.1:
	s_load_b128 s[12:15], s[0:1], 0x8
	v_and_b32_e32 v0, 31, v0
	s_wait_kmcnt 0x0
	s_delay_alu instid0(VALU_DEP_1)
	v_cmp_gt_i64_e32 vcc_lo, s[12:13], v[0:1]
	s_and_b32 exec_lo, exec_lo, vcc_lo
	s_cbranch_execz .LBB18_6
; %bb.2:
	v_mad_nc_u64_u32 v[4:5], s12, v2, v[0:1]
	s_clause 0x2
	s_load_b32 s3, s[0:1], 0x40
	s_load_b256 s[4:11], s[0:1], 0x20
	s_load_b32 s2, s[0:1], 0x0
	s_delay_alu instid0(VALU_DEP_1) | instskip(SKIP_4) | instid1(VALU_DEP_1)
	v_mad_u32 v5, s13, v2, v5
	s_wait_kmcnt 0x0
	s_cmp_eq_u32 s3, 1
	s_mov_b32 s3, 0
	s_cselect_b32 vcc_lo, -1, 0
	v_lshl_add_u64 v[2:3], v[4:5], 3, s[6:7]
	v_lshl_add_u64 v[4:5], v[4:5], 4, s[4:5]
	s_mov_b32 s4, s3
	s_branch .LBB18_4
.LBB18_3:                               ;   in Loop: Header=BB18_4 Depth=1
	s_wait_xcnt 0x0
	s_or_b32 exec_lo, exec_lo, s0
	v_add_nc_u64_e32 v[0:1], 32, v[0:1]
	v_add_nc_u64_e32 v[2:3], 0x100, v[2:3]
	;; [unrolled: 1-line block ×3, first 2 shown]
	s_delay_alu instid0(VALU_DEP_3) | instskip(SKIP_1) | instid1(SALU_CYCLE_1)
	v_cmp_le_i64_e64 s0, s[12:13], v[0:1]
	s_or_b32 s4, s0, s4
	s_and_not1_b32 exec_lo, exec_lo, s4
	s_cbranch_execz .LBB18_6
.LBB18_4:                               ; =>This Inner Loop Header: Depth=1
	global_load_b64 v[6:7], v[2:3], off
	s_wait_loadcnt 0x0
	v_sub_nc_u64_e64 v[6:7], v[6:7], s[2:3]
	s_delay_alu instid0(VALU_DEP_1)
	v_cmp_lt_i64_e64 s0, -1, v[6:7]
	v_cmp_gt_i64_e64 s1, s[14:15], v[6:7]
	s_and_b32 s1, s0, s1
	s_wait_xcnt 0x0
	s_and_saveexec_b32 s0, s1
	s_cbranch_execz .LBB18_3
; %bb.5:                                ;   in Loop: Header=BB18_4 Depth=1
	global_load_b128 v[8:11], v[4:5], off
	v_dual_cndmask_b32 v13, v1, v7 :: v_dual_cndmask_b32 v12, v0, v6
	v_dual_cndmask_b32 v7, v7, v1 :: v_dual_cndmask_b32 v6, v6, v0
	s_delay_alu instid0(VALU_DEP_2) | instskip(NEXT) | instid1(VALU_DEP_1)
	v_mul_u64_e32 v[12:13], s[10:11], v[12:13]
	v_lshl_add_u64 v[12:13], v[12:13], 4, s[8:9]
	s_delay_alu instid0(VALU_DEP_1)
	v_lshl_add_u64 v[6:7], v[6:7], 4, v[12:13]
	s_wait_loadcnt 0x0
	global_store_b128 v[6:7], v[8:11], off
	s_branch .LBB18_3
.LBB18_6:
	s_endpgm
	.section	.rodata,"a",@progbits
	.p2align	6, 0x0
	.amdhsa_kernel _ZN9rocsparseL16ell2dense_kernelILi16ELi32El21rocsparse_complex_numIdEEEv21rocsparse_index_base_T1_S4_S4_PKT2_PKS4_PS5_l16rocsparse_order_
		.amdhsa_group_segment_fixed_size 0
		.amdhsa_private_segment_fixed_size 0
		.amdhsa_kernarg_size 68
		.amdhsa_user_sgpr_count 2
		.amdhsa_user_sgpr_dispatch_ptr 0
		.amdhsa_user_sgpr_queue_ptr 0
		.amdhsa_user_sgpr_kernarg_segment_ptr 1
		.amdhsa_user_sgpr_dispatch_id 0
		.amdhsa_user_sgpr_kernarg_preload_length 0
		.amdhsa_user_sgpr_kernarg_preload_offset 0
		.amdhsa_user_sgpr_private_segment_size 0
		.amdhsa_wavefront_size32 1
		.amdhsa_uses_dynamic_stack 0
		.amdhsa_enable_private_segment 0
		.amdhsa_system_sgpr_workgroup_id_x 1
		.amdhsa_system_sgpr_workgroup_id_y 0
		.amdhsa_system_sgpr_workgroup_id_z 0
		.amdhsa_system_sgpr_workgroup_info 0
		.amdhsa_system_vgpr_workitem_id 0
		.amdhsa_next_free_vgpr 14
		.amdhsa_next_free_sgpr 16
		.amdhsa_named_barrier_count 0
		.amdhsa_reserve_vcc 1
		.amdhsa_float_round_mode_32 0
		.amdhsa_float_round_mode_16_64 0
		.amdhsa_float_denorm_mode_32 3
		.amdhsa_float_denorm_mode_16_64 3
		.amdhsa_fp16_overflow 0
		.amdhsa_memory_ordered 1
		.amdhsa_forward_progress 1
		.amdhsa_inst_pref_size 4
		.amdhsa_round_robin_scheduling 0
		.amdhsa_exception_fp_ieee_invalid_op 0
		.amdhsa_exception_fp_denorm_src 0
		.amdhsa_exception_fp_ieee_div_zero 0
		.amdhsa_exception_fp_ieee_overflow 0
		.amdhsa_exception_fp_ieee_underflow 0
		.amdhsa_exception_fp_ieee_inexact 0
		.amdhsa_exception_int_div_zero 0
	.end_amdhsa_kernel
	.section	.text._ZN9rocsparseL16ell2dense_kernelILi16ELi32El21rocsparse_complex_numIdEEEv21rocsparse_index_base_T1_S4_S4_PKT2_PKS4_PS5_l16rocsparse_order_,"axG",@progbits,_ZN9rocsparseL16ell2dense_kernelILi16ELi32El21rocsparse_complex_numIdEEEv21rocsparse_index_base_T1_S4_S4_PKT2_PKS4_PS5_l16rocsparse_order_,comdat
.Lfunc_end18:
	.size	_ZN9rocsparseL16ell2dense_kernelILi16ELi32El21rocsparse_complex_numIdEEEv21rocsparse_index_base_T1_S4_S4_PKT2_PKS4_PS5_l16rocsparse_order_, .Lfunc_end18-_ZN9rocsparseL16ell2dense_kernelILi16ELi32El21rocsparse_complex_numIdEEEv21rocsparse_index_base_T1_S4_S4_PKT2_PKS4_PS5_l16rocsparse_order_
                                        ; -- End function
	.set _ZN9rocsparseL16ell2dense_kernelILi16ELi32El21rocsparse_complex_numIdEEEv21rocsparse_index_base_T1_S4_S4_PKT2_PKS4_PS5_l16rocsparse_order_.num_vgpr, 14
	.set _ZN9rocsparseL16ell2dense_kernelILi16ELi32El21rocsparse_complex_numIdEEEv21rocsparse_index_base_T1_S4_S4_PKT2_PKS4_PS5_l16rocsparse_order_.num_agpr, 0
	.set _ZN9rocsparseL16ell2dense_kernelILi16ELi32El21rocsparse_complex_numIdEEEv21rocsparse_index_base_T1_S4_S4_PKT2_PKS4_PS5_l16rocsparse_order_.numbered_sgpr, 16
	.set _ZN9rocsparseL16ell2dense_kernelILi16ELi32El21rocsparse_complex_numIdEEEv21rocsparse_index_base_T1_S4_S4_PKT2_PKS4_PS5_l16rocsparse_order_.num_named_barrier, 0
	.set _ZN9rocsparseL16ell2dense_kernelILi16ELi32El21rocsparse_complex_numIdEEEv21rocsparse_index_base_T1_S4_S4_PKT2_PKS4_PS5_l16rocsparse_order_.private_seg_size, 0
	.set _ZN9rocsparseL16ell2dense_kernelILi16ELi32El21rocsparse_complex_numIdEEEv21rocsparse_index_base_T1_S4_S4_PKT2_PKS4_PS5_l16rocsparse_order_.uses_vcc, 1
	.set _ZN9rocsparseL16ell2dense_kernelILi16ELi32El21rocsparse_complex_numIdEEEv21rocsparse_index_base_T1_S4_S4_PKT2_PKS4_PS5_l16rocsparse_order_.uses_flat_scratch, 0
	.set _ZN9rocsparseL16ell2dense_kernelILi16ELi32El21rocsparse_complex_numIdEEEv21rocsparse_index_base_T1_S4_S4_PKT2_PKS4_PS5_l16rocsparse_order_.has_dyn_sized_stack, 0
	.set _ZN9rocsparseL16ell2dense_kernelILi16ELi32El21rocsparse_complex_numIdEEEv21rocsparse_index_base_T1_S4_S4_PKT2_PKS4_PS5_l16rocsparse_order_.has_recursion, 0
	.set _ZN9rocsparseL16ell2dense_kernelILi16ELi32El21rocsparse_complex_numIdEEEv21rocsparse_index_base_T1_S4_S4_PKT2_PKS4_PS5_l16rocsparse_order_.has_indirect_call, 0
	.section	.AMDGPU.csdata,"",@progbits
; Kernel info:
; codeLenInByte = 396
; TotalNumSgprs: 18
; NumVgprs: 14
; ScratchSize: 0
; MemoryBound: 0
; FloatMode: 240
; IeeeMode: 1
; LDSByteSize: 0 bytes/workgroup (compile time only)
; SGPRBlocks: 0
; VGPRBlocks: 0
; NumSGPRsForWavesPerEU: 18
; NumVGPRsForWavesPerEU: 14
; NamedBarCnt: 0
; Occupancy: 16
; WaveLimiterHint : 1
; COMPUTE_PGM_RSRC2:SCRATCH_EN: 0
; COMPUTE_PGM_RSRC2:USER_SGPR: 2
; COMPUTE_PGM_RSRC2:TRAP_HANDLER: 0
; COMPUTE_PGM_RSRC2:TGID_X_EN: 1
; COMPUTE_PGM_RSRC2:TGID_Y_EN: 0
; COMPUTE_PGM_RSRC2:TGID_Z_EN: 0
; COMPUTE_PGM_RSRC2:TIDIG_COMP_CNT: 0
	.section	.text._ZN9rocsparseL16ell2dense_kernelILi16ELi64El21rocsparse_complex_numIdEEEv21rocsparse_index_base_T1_S4_S4_PKT2_PKS4_PS5_l16rocsparse_order_,"axG",@progbits,_ZN9rocsparseL16ell2dense_kernelILi16ELi64El21rocsparse_complex_numIdEEEv21rocsparse_index_base_T1_S4_S4_PKT2_PKS4_PS5_l16rocsparse_order_,comdat
	.globl	_ZN9rocsparseL16ell2dense_kernelILi16ELi64El21rocsparse_complex_numIdEEEv21rocsparse_index_base_T1_S4_S4_PKT2_PKS4_PS5_l16rocsparse_order_ ; -- Begin function _ZN9rocsparseL16ell2dense_kernelILi16ELi64El21rocsparse_complex_numIdEEEv21rocsparse_index_base_T1_S4_S4_PKT2_PKS4_PS5_l16rocsparse_order_
	.p2align	8
	.type	_ZN9rocsparseL16ell2dense_kernelILi16ELi64El21rocsparse_complex_numIdEEEv21rocsparse_index_base_T1_S4_S4_PKT2_PKS4_PS5_l16rocsparse_order_,@function
_ZN9rocsparseL16ell2dense_kernelILi16ELi64El21rocsparse_complex_numIdEEEv21rocsparse_index_base_T1_S4_S4_PKT2_PKS4_PS5_l16rocsparse_order_: ; @_ZN9rocsparseL16ell2dense_kernelILi16ELi64El21rocsparse_complex_numIdEEEv21rocsparse_index_base_T1_S4_S4_PKT2_PKS4_PS5_l16rocsparse_order_
; %bb.0:
	s_load_b64 s[2:3], s[0:1], 0x18
	s_bfe_u32 s4, ttmp6, 0x4000c
	s_and_b32 s5, ttmp6, 15
	s_add_co_i32 s4, s4, 1
	s_getreg_b32 s6, hwreg(HW_REG_IB_STS2, 6, 4)
	s_mul_i32 s4, ttmp9, s4
	v_dual_mov_b32 v1, 0 :: v_dual_lshrrev_b32 v2, 6, v0
	s_add_co_i32 s5, s5, s4
	s_cmp_eq_u32 s6, 0
	s_cselect_b32 s4, ttmp9, s5
	s_delay_alu instid0(VALU_DEP_1) | instskip(SKIP_2) | instid1(VALU_DEP_1)
	v_mov_b32_e32 v3, v1
	v_lshl_or_b32 v2, s4, 4, v2
	s_wait_kmcnt 0x0
	v_cmp_gt_i64_e32 vcc_lo, s[2:3], v[2:3]
	s_and_saveexec_b32 s2, vcc_lo
	s_cbranch_execz .LBB19_6
; %bb.1:
	s_load_b128 s[12:15], s[0:1], 0x8
	v_and_b32_e32 v0, 63, v0
	s_wait_kmcnt 0x0
	s_delay_alu instid0(VALU_DEP_1)
	v_cmp_gt_i64_e32 vcc_lo, s[12:13], v[0:1]
	s_and_b32 exec_lo, exec_lo, vcc_lo
	s_cbranch_execz .LBB19_6
; %bb.2:
	v_mad_nc_u64_u32 v[4:5], s12, v2, v[0:1]
	s_clause 0x2
	s_load_b32 s3, s[0:1], 0x40
	s_load_b256 s[4:11], s[0:1], 0x20
	s_load_b32 s2, s[0:1], 0x0
	s_delay_alu instid0(VALU_DEP_1) | instskip(SKIP_4) | instid1(VALU_DEP_1)
	v_mad_u32 v5, s13, v2, v5
	s_wait_kmcnt 0x0
	s_cmp_eq_u32 s3, 1
	s_mov_b32 s3, 0
	s_cselect_b32 vcc_lo, -1, 0
	v_lshl_add_u64 v[2:3], v[4:5], 3, s[6:7]
	v_lshl_add_u64 v[4:5], v[4:5], 4, s[4:5]
	s_mov_b32 s4, s3
	s_branch .LBB19_4
.LBB19_3:                               ;   in Loop: Header=BB19_4 Depth=1
	s_wait_xcnt 0x0
	s_or_b32 exec_lo, exec_lo, s0
	v_add_nc_u64_e32 v[0:1], 64, v[0:1]
	v_add_nc_u64_e32 v[2:3], 0x200, v[2:3]
	;; [unrolled: 1-line block ×3, first 2 shown]
	s_delay_alu instid0(VALU_DEP_3) | instskip(SKIP_1) | instid1(SALU_CYCLE_1)
	v_cmp_le_i64_e64 s0, s[12:13], v[0:1]
	s_or_b32 s4, s0, s4
	s_and_not1_b32 exec_lo, exec_lo, s4
	s_cbranch_execz .LBB19_6
.LBB19_4:                               ; =>This Inner Loop Header: Depth=1
	global_load_b64 v[6:7], v[2:3], off
	s_wait_loadcnt 0x0
	v_sub_nc_u64_e64 v[6:7], v[6:7], s[2:3]
	s_delay_alu instid0(VALU_DEP_1)
	v_cmp_lt_i64_e64 s0, -1, v[6:7]
	v_cmp_gt_i64_e64 s1, s[14:15], v[6:7]
	s_and_b32 s1, s0, s1
	s_wait_xcnt 0x0
	s_and_saveexec_b32 s0, s1
	s_cbranch_execz .LBB19_3
; %bb.5:                                ;   in Loop: Header=BB19_4 Depth=1
	global_load_b128 v[8:11], v[4:5], off
	v_dual_cndmask_b32 v13, v1, v7 :: v_dual_cndmask_b32 v12, v0, v6
	v_dual_cndmask_b32 v7, v7, v1 :: v_dual_cndmask_b32 v6, v6, v0
	s_delay_alu instid0(VALU_DEP_2) | instskip(NEXT) | instid1(VALU_DEP_1)
	v_mul_u64_e32 v[12:13], s[10:11], v[12:13]
	v_lshl_add_u64 v[12:13], v[12:13], 4, s[8:9]
	s_delay_alu instid0(VALU_DEP_1)
	v_lshl_add_u64 v[6:7], v[6:7], 4, v[12:13]
	s_wait_loadcnt 0x0
	global_store_b128 v[6:7], v[8:11], off
	s_branch .LBB19_3
.LBB19_6:
	s_endpgm
	.section	.rodata,"a",@progbits
	.p2align	6, 0x0
	.amdhsa_kernel _ZN9rocsparseL16ell2dense_kernelILi16ELi64El21rocsparse_complex_numIdEEEv21rocsparse_index_base_T1_S4_S4_PKT2_PKS4_PS5_l16rocsparse_order_
		.amdhsa_group_segment_fixed_size 0
		.amdhsa_private_segment_fixed_size 0
		.amdhsa_kernarg_size 68
		.amdhsa_user_sgpr_count 2
		.amdhsa_user_sgpr_dispatch_ptr 0
		.amdhsa_user_sgpr_queue_ptr 0
		.amdhsa_user_sgpr_kernarg_segment_ptr 1
		.amdhsa_user_sgpr_dispatch_id 0
		.amdhsa_user_sgpr_kernarg_preload_length 0
		.amdhsa_user_sgpr_kernarg_preload_offset 0
		.amdhsa_user_sgpr_private_segment_size 0
		.amdhsa_wavefront_size32 1
		.amdhsa_uses_dynamic_stack 0
		.amdhsa_enable_private_segment 0
		.amdhsa_system_sgpr_workgroup_id_x 1
		.amdhsa_system_sgpr_workgroup_id_y 0
		.amdhsa_system_sgpr_workgroup_id_z 0
		.amdhsa_system_sgpr_workgroup_info 0
		.amdhsa_system_vgpr_workitem_id 0
		.amdhsa_next_free_vgpr 14
		.amdhsa_next_free_sgpr 16
		.amdhsa_named_barrier_count 0
		.amdhsa_reserve_vcc 1
		.amdhsa_float_round_mode_32 0
		.amdhsa_float_round_mode_16_64 0
		.amdhsa_float_denorm_mode_32 3
		.amdhsa_float_denorm_mode_16_64 3
		.amdhsa_fp16_overflow 0
		.amdhsa_memory_ordered 1
		.amdhsa_forward_progress 1
		.amdhsa_inst_pref_size 4
		.amdhsa_round_robin_scheduling 0
		.amdhsa_exception_fp_ieee_invalid_op 0
		.amdhsa_exception_fp_denorm_src 0
		.amdhsa_exception_fp_ieee_div_zero 0
		.amdhsa_exception_fp_ieee_overflow 0
		.amdhsa_exception_fp_ieee_underflow 0
		.amdhsa_exception_fp_ieee_inexact 0
		.amdhsa_exception_int_div_zero 0
	.end_amdhsa_kernel
	.section	.text._ZN9rocsparseL16ell2dense_kernelILi16ELi64El21rocsparse_complex_numIdEEEv21rocsparse_index_base_T1_S4_S4_PKT2_PKS4_PS5_l16rocsparse_order_,"axG",@progbits,_ZN9rocsparseL16ell2dense_kernelILi16ELi64El21rocsparse_complex_numIdEEEv21rocsparse_index_base_T1_S4_S4_PKT2_PKS4_PS5_l16rocsparse_order_,comdat
.Lfunc_end19:
	.size	_ZN9rocsparseL16ell2dense_kernelILi16ELi64El21rocsparse_complex_numIdEEEv21rocsparse_index_base_T1_S4_S4_PKT2_PKS4_PS5_l16rocsparse_order_, .Lfunc_end19-_ZN9rocsparseL16ell2dense_kernelILi16ELi64El21rocsparse_complex_numIdEEEv21rocsparse_index_base_T1_S4_S4_PKT2_PKS4_PS5_l16rocsparse_order_
                                        ; -- End function
	.set _ZN9rocsparseL16ell2dense_kernelILi16ELi64El21rocsparse_complex_numIdEEEv21rocsparse_index_base_T1_S4_S4_PKT2_PKS4_PS5_l16rocsparse_order_.num_vgpr, 14
	.set _ZN9rocsparseL16ell2dense_kernelILi16ELi64El21rocsparse_complex_numIdEEEv21rocsparse_index_base_T1_S4_S4_PKT2_PKS4_PS5_l16rocsparse_order_.num_agpr, 0
	.set _ZN9rocsparseL16ell2dense_kernelILi16ELi64El21rocsparse_complex_numIdEEEv21rocsparse_index_base_T1_S4_S4_PKT2_PKS4_PS5_l16rocsparse_order_.numbered_sgpr, 16
	.set _ZN9rocsparseL16ell2dense_kernelILi16ELi64El21rocsparse_complex_numIdEEEv21rocsparse_index_base_T1_S4_S4_PKT2_PKS4_PS5_l16rocsparse_order_.num_named_barrier, 0
	.set _ZN9rocsparseL16ell2dense_kernelILi16ELi64El21rocsparse_complex_numIdEEEv21rocsparse_index_base_T1_S4_S4_PKT2_PKS4_PS5_l16rocsparse_order_.private_seg_size, 0
	.set _ZN9rocsparseL16ell2dense_kernelILi16ELi64El21rocsparse_complex_numIdEEEv21rocsparse_index_base_T1_S4_S4_PKT2_PKS4_PS5_l16rocsparse_order_.uses_vcc, 1
	.set _ZN9rocsparseL16ell2dense_kernelILi16ELi64El21rocsparse_complex_numIdEEEv21rocsparse_index_base_T1_S4_S4_PKT2_PKS4_PS5_l16rocsparse_order_.uses_flat_scratch, 0
	.set _ZN9rocsparseL16ell2dense_kernelILi16ELi64El21rocsparse_complex_numIdEEEv21rocsparse_index_base_T1_S4_S4_PKT2_PKS4_PS5_l16rocsparse_order_.has_dyn_sized_stack, 0
	.set _ZN9rocsparseL16ell2dense_kernelILi16ELi64El21rocsparse_complex_numIdEEEv21rocsparse_index_base_T1_S4_S4_PKT2_PKS4_PS5_l16rocsparse_order_.has_recursion, 0
	.set _ZN9rocsparseL16ell2dense_kernelILi16ELi64El21rocsparse_complex_numIdEEEv21rocsparse_index_base_T1_S4_S4_PKT2_PKS4_PS5_l16rocsparse_order_.has_indirect_call, 0
	.section	.AMDGPU.csdata,"",@progbits
; Kernel info:
; codeLenInByte = 396
; TotalNumSgprs: 18
; NumVgprs: 14
; ScratchSize: 0
; MemoryBound: 0
; FloatMode: 240
; IeeeMode: 1
; LDSByteSize: 0 bytes/workgroup (compile time only)
; SGPRBlocks: 0
; VGPRBlocks: 0
; NumSGPRsForWavesPerEU: 18
; NumVGPRsForWavesPerEU: 14
; NamedBarCnt: 0
; Occupancy: 16
; WaveLimiterHint : 1
; COMPUTE_PGM_RSRC2:SCRATCH_EN: 0
; COMPUTE_PGM_RSRC2:USER_SGPR: 2
; COMPUTE_PGM_RSRC2:TRAP_HANDLER: 0
; COMPUTE_PGM_RSRC2:TGID_X_EN: 1
; COMPUTE_PGM_RSRC2:TGID_Y_EN: 0
; COMPUTE_PGM_RSRC2:TGID_Z_EN: 0
; COMPUTE_PGM_RSRC2:TIDIG_COMP_CNT: 0
	.section	.AMDGPU.gpr_maximums,"",@progbits
	.set amdgpu.max_num_vgpr, 0
	.set amdgpu.max_num_agpr, 0
	.set amdgpu.max_num_sgpr, 0
	.section	.AMDGPU.csdata,"",@progbits
	.type	__hip_cuid_16596063ec60ee7,@object ; @__hip_cuid_16596063ec60ee7
	.section	.bss,"aw",@nobits
	.globl	__hip_cuid_16596063ec60ee7
__hip_cuid_16596063ec60ee7:
	.byte	0                               ; 0x0
	.size	__hip_cuid_16596063ec60ee7, 1

	.ident	"AMD clang version 22.0.0git (https://github.com/RadeonOpenCompute/llvm-project roc-7.2.4 26084 f58b06dce1f9c15707c5f808fd002e18c2accf7e)"
	.section	".note.GNU-stack","",@progbits
	.addrsig
	.addrsig_sym __hip_cuid_16596063ec60ee7
	.amdgpu_metadata
---
amdhsa.kernels:
  - .args:
      - .offset:         0
        .size:           4
        .value_kind:     by_value
      - .offset:         4
        .size:           4
        .value_kind:     by_value
      - .offset:         8
        .size:           4
        .value_kind:     by_value
      - .offset:         12
        .size:           4
        .value_kind:     by_value
      - .actual_access:  read_only
        .address_space:  global
        .offset:         16
        .size:           8
        .value_kind:     global_buffer
      - .actual_access:  read_only
        .address_space:  global
        .offset:         24
        .size:           8
        .value_kind:     global_buffer
      - .actual_access:  write_only
        .address_space:  global
        .offset:         32
        .size:           8
        .value_kind:     global_buffer
      - .offset:         40
        .size:           8
        .value_kind:     by_value
      - .offset:         48
        .size:           4
        .value_kind:     by_value
    .group_segment_fixed_size: 0
    .kernarg_segment_align: 8
    .kernarg_segment_size: 52
    .language:       OpenCL C
    .language_version:
      - 2
      - 0
    .max_flat_workgroup_size: 512
    .name:           _ZN9rocsparseL16ell2dense_kernelILi16ELi32EiDF16_EEv21rocsparse_index_base_T1_S2_S2_PKT2_PKS2_PS3_l16rocsparse_order_
    .private_segment_fixed_size: 0
    .sgpr_count:     18
    .sgpr_spill_count: 0
    .symbol:         _ZN9rocsparseL16ell2dense_kernelILi16ELi32EiDF16_EEv21rocsparse_index_base_T1_S2_S2_PKT2_PKS2_PS3_l16rocsparse_order_.kd
    .uniform_work_group_size: 1
    .uses_dynamic_stack: false
    .vgpr_count:     9
    .vgpr_spill_count: 0
    .wavefront_size: 32
  - .args:
      - .offset:         0
        .size:           4
        .value_kind:     by_value
      - .offset:         4
        .size:           4
        .value_kind:     by_value
      - .offset:         8
        .size:           4
        .value_kind:     by_value
      - .offset:         12
        .size:           4
        .value_kind:     by_value
      - .actual_access:  read_only
        .address_space:  global
        .offset:         16
        .size:           8
        .value_kind:     global_buffer
      - .actual_access:  read_only
        .address_space:  global
        .offset:         24
        .size:           8
        .value_kind:     global_buffer
      - .actual_access:  write_only
        .address_space:  global
        .offset:         32
        .size:           8
        .value_kind:     global_buffer
      - .offset:         40
        .size:           8
        .value_kind:     by_value
      - .offset:         48
        .size:           4
        .value_kind:     by_value
    .group_segment_fixed_size: 0
    .kernarg_segment_align: 8
    .kernarg_segment_size: 52
    .language:       OpenCL C
    .language_version:
      - 2
      - 0
    .max_flat_workgroup_size: 1024
    .name:           _ZN9rocsparseL16ell2dense_kernelILi16ELi64EiDF16_EEv21rocsparse_index_base_T1_S2_S2_PKT2_PKS2_PS3_l16rocsparse_order_
    .private_segment_fixed_size: 0
    .sgpr_count:     18
    .sgpr_spill_count: 0
    .symbol:         _ZN9rocsparseL16ell2dense_kernelILi16ELi64EiDF16_EEv21rocsparse_index_base_T1_S2_S2_PKT2_PKS2_PS3_l16rocsparse_order_.kd
    .uniform_work_group_size: 1
    .uses_dynamic_stack: false
    .vgpr_count:     9
    .vgpr_spill_count: 0
    .wavefront_size: 32
  - .args:
      - .offset:         0
        .size:           4
        .value_kind:     by_value
      - .offset:         4
        .size:           4
        .value_kind:     by_value
      - .offset:         8
        .size:           4
        .value_kind:     by_value
      - .offset:         12
        .size:           4
        .value_kind:     by_value
      - .actual_access:  read_only
        .address_space:  global
        .offset:         16
        .size:           8
        .value_kind:     global_buffer
      - .actual_access:  read_only
        .address_space:  global
        .offset:         24
        .size:           8
        .value_kind:     global_buffer
      - .actual_access:  write_only
        .address_space:  global
        .offset:         32
        .size:           8
        .value_kind:     global_buffer
      - .offset:         40
        .size:           8
        .value_kind:     by_value
      - .offset:         48
        .size:           4
        .value_kind:     by_value
    .group_segment_fixed_size: 0
    .kernarg_segment_align: 8
    .kernarg_segment_size: 52
    .language:       OpenCL C
    .language_version:
      - 2
      - 0
    .max_flat_workgroup_size: 512
    .name:           _ZN9rocsparseL16ell2dense_kernelILi16ELi32EifEEv21rocsparse_index_base_T1_S2_S2_PKT2_PKS2_PS3_l16rocsparse_order_
    .private_segment_fixed_size: 0
    .sgpr_count:     18
    .sgpr_spill_count: 0
    .symbol:         _ZN9rocsparseL16ell2dense_kernelILi16ELi32EifEEv21rocsparse_index_base_T1_S2_S2_PKT2_PKS2_PS3_l16rocsparse_order_.kd
    .uniform_work_group_size: 1
    .uses_dynamic_stack: false
    .vgpr_count:     9
    .vgpr_spill_count: 0
    .wavefront_size: 32
  - .args:
      - .offset:         0
        .size:           4
        .value_kind:     by_value
      - .offset:         4
        .size:           4
        .value_kind:     by_value
      - .offset:         8
        .size:           4
        .value_kind:     by_value
      - .offset:         12
        .size:           4
        .value_kind:     by_value
      - .actual_access:  read_only
        .address_space:  global
        .offset:         16
        .size:           8
        .value_kind:     global_buffer
      - .actual_access:  read_only
        .address_space:  global
        .offset:         24
        .size:           8
        .value_kind:     global_buffer
      - .actual_access:  write_only
        .address_space:  global
        .offset:         32
        .size:           8
        .value_kind:     global_buffer
      - .offset:         40
        .size:           8
        .value_kind:     by_value
      - .offset:         48
        .size:           4
        .value_kind:     by_value
    .group_segment_fixed_size: 0
    .kernarg_segment_align: 8
    .kernarg_segment_size: 52
    .language:       OpenCL C
    .language_version:
      - 2
      - 0
    .max_flat_workgroup_size: 1024
    .name:           _ZN9rocsparseL16ell2dense_kernelILi16ELi64EifEEv21rocsparse_index_base_T1_S2_S2_PKT2_PKS2_PS3_l16rocsparse_order_
    .private_segment_fixed_size: 0
    .sgpr_count:     18
    .sgpr_spill_count: 0
    .symbol:         _ZN9rocsparseL16ell2dense_kernelILi16ELi64EifEEv21rocsparse_index_base_T1_S2_S2_PKT2_PKS2_PS3_l16rocsparse_order_.kd
    .uniform_work_group_size: 1
    .uses_dynamic_stack: false
    .vgpr_count:     9
    .vgpr_spill_count: 0
    .wavefront_size: 32
  - .args:
      - .offset:         0
        .size:           4
        .value_kind:     by_value
      - .offset:         4
        .size:           4
        .value_kind:     by_value
      - .offset:         8
        .size:           4
        .value_kind:     by_value
      - .offset:         12
        .size:           4
        .value_kind:     by_value
      - .actual_access:  read_only
        .address_space:  global
        .offset:         16
        .size:           8
        .value_kind:     global_buffer
      - .actual_access:  read_only
        .address_space:  global
        .offset:         24
        .size:           8
        .value_kind:     global_buffer
      - .actual_access:  write_only
        .address_space:  global
        .offset:         32
        .size:           8
        .value_kind:     global_buffer
      - .offset:         40
        .size:           8
        .value_kind:     by_value
      - .offset:         48
        .size:           4
        .value_kind:     by_value
    .group_segment_fixed_size: 0
    .kernarg_segment_align: 8
    .kernarg_segment_size: 52
    .language:       OpenCL C
    .language_version:
      - 2
      - 0
    .max_flat_workgroup_size: 512
    .name:           _ZN9rocsparseL16ell2dense_kernelILi16ELi32EidEEv21rocsparse_index_base_T1_S2_S2_PKT2_PKS2_PS3_l16rocsparse_order_
    .private_segment_fixed_size: 0
    .sgpr_count:     18
    .sgpr_spill_count: 0
    .symbol:         _ZN9rocsparseL16ell2dense_kernelILi16ELi32EidEEv21rocsparse_index_base_T1_S2_S2_PKT2_PKS2_PS3_l16rocsparse_order_.kd
    .uniform_work_group_size: 1
    .uses_dynamic_stack: false
    .vgpr_count:     10
    .vgpr_spill_count: 0
    .wavefront_size: 32
  - .args:
      - .offset:         0
        .size:           4
        .value_kind:     by_value
      - .offset:         4
        .size:           4
        .value_kind:     by_value
      - .offset:         8
        .size:           4
        .value_kind:     by_value
      - .offset:         12
        .size:           4
        .value_kind:     by_value
      - .actual_access:  read_only
        .address_space:  global
        .offset:         16
        .size:           8
        .value_kind:     global_buffer
      - .actual_access:  read_only
        .address_space:  global
        .offset:         24
        .size:           8
        .value_kind:     global_buffer
      - .actual_access:  write_only
        .address_space:  global
        .offset:         32
        .size:           8
        .value_kind:     global_buffer
      - .offset:         40
        .size:           8
        .value_kind:     by_value
      - .offset:         48
        .size:           4
        .value_kind:     by_value
    .group_segment_fixed_size: 0
    .kernarg_segment_align: 8
    .kernarg_segment_size: 52
    .language:       OpenCL C
    .language_version:
      - 2
      - 0
    .max_flat_workgroup_size: 1024
    .name:           _ZN9rocsparseL16ell2dense_kernelILi16ELi64EidEEv21rocsparse_index_base_T1_S2_S2_PKT2_PKS2_PS3_l16rocsparse_order_
    .private_segment_fixed_size: 0
    .sgpr_count:     18
    .sgpr_spill_count: 0
    .symbol:         _ZN9rocsparseL16ell2dense_kernelILi16ELi64EidEEv21rocsparse_index_base_T1_S2_S2_PKT2_PKS2_PS3_l16rocsparse_order_.kd
    .uniform_work_group_size: 1
    .uses_dynamic_stack: false
    .vgpr_count:     10
    .vgpr_spill_count: 0
    .wavefront_size: 32
  - .args:
      - .offset:         0
        .size:           4
        .value_kind:     by_value
      - .offset:         4
        .size:           4
        .value_kind:     by_value
      - .offset:         8
        .size:           4
        .value_kind:     by_value
      - .offset:         12
        .size:           4
        .value_kind:     by_value
      - .actual_access:  read_only
        .address_space:  global
        .offset:         16
        .size:           8
        .value_kind:     global_buffer
      - .actual_access:  read_only
        .address_space:  global
        .offset:         24
        .size:           8
        .value_kind:     global_buffer
      - .actual_access:  write_only
        .address_space:  global
        .offset:         32
        .size:           8
        .value_kind:     global_buffer
      - .offset:         40
        .size:           8
        .value_kind:     by_value
      - .offset:         48
        .size:           4
        .value_kind:     by_value
    .group_segment_fixed_size: 0
    .kernarg_segment_align: 8
    .kernarg_segment_size: 52
    .language:       OpenCL C
    .language_version:
      - 2
      - 0
    .max_flat_workgroup_size: 512
    .name:           _ZN9rocsparseL16ell2dense_kernelILi16ELi32Ei21rocsparse_complex_numIfEEEv21rocsparse_index_base_T1_S4_S4_PKT2_PKS4_PS5_l16rocsparse_order_
    .private_segment_fixed_size: 0
    .sgpr_count:     18
    .sgpr_spill_count: 0
    .symbol:         _ZN9rocsparseL16ell2dense_kernelILi16ELi32Ei21rocsparse_complex_numIfEEEv21rocsparse_index_base_T1_S4_S4_PKT2_PKS4_PS5_l16rocsparse_order_.kd
    .uniform_work_group_size: 1
    .uses_dynamic_stack: false
    .vgpr_count:     10
    .vgpr_spill_count: 0
    .wavefront_size: 32
  - .args:
      - .offset:         0
        .size:           4
        .value_kind:     by_value
      - .offset:         4
        .size:           4
        .value_kind:     by_value
      - .offset:         8
        .size:           4
        .value_kind:     by_value
      - .offset:         12
        .size:           4
        .value_kind:     by_value
      - .actual_access:  read_only
        .address_space:  global
        .offset:         16
        .size:           8
        .value_kind:     global_buffer
      - .actual_access:  read_only
        .address_space:  global
        .offset:         24
        .size:           8
        .value_kind:     global_buffer
      - .actual_access:  write_only
        .address_space:  global
        .offset:         32
        .size:           8
        .value_kind:     global_buffer
      - .offset:         40
        .size:           8
        .value_kind:     by_value
      - .offset:         48
        .size:           4
        .value_kind:     by_value
    .group_segment_fixed_size: 0
    .kernarg_segment_align: 8
    .kernarg_segment_size: 52
    .language:       OpenCL C
    .language_version:
      - 2
      - 0
    .max_flat_workgroup_size: 1024
    .name:           _ZN9rocsparseL16ell2dense_kernelILi16ELi64Ei21rocsparse_complex_numIfEEEv21rocsparse_index_base_T1_S4_S4_PKT2_PKS4_PS5_l16rocsparse_order_
    .private_segment_fixed_size: 0
    .sgpr_count:     18
    .sgpr_spill_count: 0
    .symbol:         _ZN9rocsparseL16ell2dense_kernelILi16ELi64Ei21rocsparse_complex_numIfEEEv21rocsparse_index_base_T1_S4_S4_PKT2_PKS4_PS5_l16rocsparse_order_.kd
    .uniform_work_group_size: 1
    .uses_dynamic_stack: false
    .vgpr_count:     10
    .vgpr_spill_count: 0
    .wavefront_size: 32
  - .args:
      - .offset:         0
        .size:           4
        .value_kind:     by_value
      - .offset:         4
        .size:           4
        .value_kind:     by_value
      - .offset:         8
        .size:           4
        .value_kind:     by_value
      - .offset:         12
        .size:           4
        .value_kind:     by_value
      - .actual_access:  read_only
        .address_space:  global
        .offset:         16
        .size:           8
        .value_kind:     global_buffer
      - .actual_access:  read_only
        .address_space:  global
        .offset:         24
        .size:           8
        .value_kind:     global_buffer
      - .actual_access:  write_only
        .address_space:  global
        .offset:         32
        .size:           8
        .value_kind:     global_buffer
      - .offset:         40
        .size:           8
        .value_kind:     by_value
      - .offset:         48
        .size:           4
        .value_kind:     by_value
    .group_segment_fixed_size: 0
    .kernarg_segment_align: 8
    .kernarg_segment_size: 52
    .language:       OpenCL C
    .language_version:
      - 2
      - 0
    .max_flat_workgroup_size: 512
    .name:           _ZN9rocsparseL16ell2dense_kernelILi16ELi32Ei21rocsparse_complex_numIdEEEv21rocsparse_index_base_T1_S4_S4_PKT2_PKS4_PS5_l16rocsparse_order_
    .private_segment_fixed_size: 0
    .sgpr_count:     18
    .sgpr_spill_count: 0
    .symbol:         _ZN9rocsparseL16ell2dense_kernelILi16ELi32Ei21rocsparse_complex_numIdEEEv21rocsparse_index_base_T1_S4_S4_PKT2_PKS4_PS5_l16rocsparse_order_.kd
    .uniform_work_group_size: 1
    .uses_dynamic_stack: false
    .vgpr_count:     12
    .vgpr_spill_count: 0
    .wavefront_size: 32
  - .args:
      - .offset:         0
        .size:           4
        .value_kind:     by_value
      - .offset:         4
        .size:           4
        .value_kind:     by_value
      - .offset:         8
        .size:           4
        .value_kind:     by_value
      - .offset:         12
        .size:           4
        .value_kind:     by_value
      - .actual_access:  read_only
        .address_space:  global
        .offset:         16
        .size:           8
        .value_kind:     global_buffer
      - .actual_access:  read_only
        .address_space:  global
        .offset:         24
        .size:           8
        .value_kind:     global_buffer
      - .actual_access:  write_only
        .address_space:  global
        .offset:         32
        .size:           8
        .value_kind:     global_buffer
      - .offset:         40
        .size:           8
        .value_kind:     by_value
      - .offset:         48
        .size:           4
        .value_kind:     by_value
    .group_segment_fixed_size: 0
    .kernarg_segment_align: 8
    .kernarg_segment_size: 52
    .language:       OpenCL C
    .language_version:
      - 2
      - 0
    .max_flat_workgroup_size: 1024
    .name:           _ZN9rocsparseL16ell2dense_kernelILi16ELi64Ei21rocsparse_complex_numIdEEEv21rocsparse_index_base_T1_S4_S4_PKT2_PKS4_PS5_l16rocsparse_order_
    .private_segment_fixed_size: 0
    .sgpr_count:     18
    .sgpr_spill_count: 0
    .symbol:         _ZN9rocsparseL16ell2dense_kernelILi16ELi64Ei21rocsparse_complex_numIdEEEv21rocsparse_index_base_T1_S4_S4_PKT2_PKS4_PS5_l16rocsparse_order_.kd
    .uniform_work_group_size: 1
    .uses_dynamic_stack: false
    .vgpr_count:     12
    .vgpr_spill_count: 0
    .wavefront_size: 32
  - .args:
      - .offset:         0
        .size:           4
        .value_kind:     by_value
      - .offset:         8
        .size:           8
        .value_kind:     by_value
      - .offset:         16
        .size:           8
        .value_kind:     by_value
      - .offset:         24
        .size:           8
        .value_kind:     by_value
      - .actual_access:  read_only
        .address_space:  global
        .offset:         32
        .size:           8
        .value_kind:     global_buffer
      - .actual_access:  read_only
        .address_space:  global
        .offset:         40
        .size:           8
        .value_kind:     global_buffer
      - .actual_access:  write_only
        .address_space:  global
        .offset:         48
        .size:           8
        .value_kind:     global_buffer
      - .offset:         56
        .size:           8
        .value_kind:     by_value
      - .offset:         64
        .size:           4
        .value_kind:     by_value
    .group_segment_fixed_size: 0
    .kernarg_segment_align: 8
    .kernarg_segment_size: 68
    .language:       OpenCL C
    .language_version:
      - 2
      - 0
    .max_flat_workgroup_size: 512
    .name:           _ZN9rocsparseL16ell2dense_kernelILi16ELi32ElDF16_EEv21rocsparse_index_base_T1_S2_S2_PKT2_PKS2_PS3_l16rocsparse_order_
    .private_segment_fixed_size: 0
    .sgpr_count:     18
    .sgpr_spill_count: 0
    .symbol:         _ZN9rocsparseL16ell2dense_kernelILi16ELi32ElDF16_EEv21rocsparse_index_base_T1_S2_S2_PKT2_PKS2_PS3_l16rocsparse_order_.kd
    .uniform_work_group_size: 1
    .uses_dynamic_stack: false
    .vgpr_count:     11
    .vgpr_spill_count: 0
    .wavefront_size: 32
  - .args:
      - .offset:         0
        .size:           4
        .value_kind:     by_value
      - .offset:         8
        .size:           8
        .value_kind:     by_value
      - .offset:         16
        .size:           8
        .value_kind:     by_value
      - .offset:         24
        .size:           8
        .value_kind:     by_value
      - .actual_access:  read_only
        .address_space:  global
        .offset:         32
        .size:           8
        .value_kind:     global_buffer
      - .actual_access:  read_only
        .address_space:  global
        .offset:         40
        .size:           8
        .value_kind:     global_buffer
      - .actual_access:  write_only
        .address_space:  global
        .offset:         48
        .size:           8
        .value_kind:     global_buffer
      - .offset:         56
        .size:           8
        .value_kind:     by_value
      - .offset:         64
        .size:           4
        .value_kind:     by_value
    .group_segment_fixed_size: 0
    .kernarg_segment_align: 8
    .kernarg_segment_size: 68
    .language:       OpenCL C
    .language_version:
      - 2
      - 0
    .max_flat_workgroup_size: 1024
    .name:           _ZN9rocsparseL16ell2dense_kernelILi16ELi64ElDF16_EEv21rocsparse_index_base_T1_S2_S2_PKT2_PKS2_PS3_l16rocsparse_order_
    .private_segment_fixed_size: 0
    .sgpr_count:     18
    .sgpr_spill_count: 0
    .symbol:         _ZN9rocsparseL16ell2dense_kernelILi16ELi64ElDF16_EEv21rocsparse_index_base_T1_S2_S2_PKT2_PKS2_PS3_l16rocsparse_order_.kd
    .uniform_work_group_size: 1
    .uses_dynamic_stack: false
    .vgpr_count:     11
    .vgpr_spill_count: 0
    .wavefront_size: 32
  - .args:
      - .offset:         0
        .size:           4
        .value_kind:     by_value
      - .offset:         8
        .size:           8
        .value_kind:     by_value
      - .offset:         16
        .size:           8
        .value_kind:     by_value
      - .offset:         24
        .size:           8
        .value_kind:     by_value
      - .actual_access:  read_only
        .address_space:  global
        .offset:         32
        .size:           8
        .value_kind:     global_buffer
      - .actual_access:  read_only
        .address_space:  global
        .offset:         40
        .size:           8
        .value_kind:     global_buffer
      - .actual_access:  write_only
        .address_space:  global
        .offset:         48
        .size:           8
        .value_kind:     global_buffer
      - .offset:         56
        .size:           8
        .value_kind:     by_value
      - .offset:         64
        .size:           4
        .value_kind:     by_value
    .group_segment_fixed_size: 0
    .kernarg_segment_align: 8
    .kernarg_segment_size: 68
    .language:       OpenCL C
    .language_version:
      - 2
      - 0
    .max_flat_workgroup_size: 512
    .name:           _ZN9rocsparseL16ell2dense_kernelILi16ELi32ElfEEv21rocsparse_index_base_T1_S2_S2_PKT2_PKS2_PS3_l16rocsparse_order_
    .private_segment_fixed_size: 0
    .sgpr_count:     18
    .sgpr_spill_count: 0
    .symbol:         _ZN9rocsparseL16ell2dense_kernelILi16ELi32ElfEEv21rocsparse_index_base_T1_S2_S2_PKT2_PKS2_PS3_l16rocsparse_order_.kd
    .uniform_work_group_size: 1
    .uses_dynamic_stack: false
    .vgpr_count:     11
    .vgpr_spill_count: 0
    .wavefront_size: 32
  - .args:
      - .offset:         0
        .size:           4
        .value_kind:     by_value
      - .offset:         8
        .size:           8
        .value_kind:     by_value
      - .offset:         16
        .size:           8
        .value_kind:     by_value
      - .offset:         24
        .size:           8
        .value_kind:     by_value
      - .actual_access:  read_only
        .address_space:  global
        .offset:         32
        .size:           8
        .value_kind:     global_buffer
      - .actual_access:  read_only
        .address_space:  global
        .offset:         40
        .size:           8
        .value_kind:     global_buffer
      - .actual_access:  write_only
        .address_space:  global
        .offset:         48
        .size:           8
        .value_kind:     global_buffer
      - .offset:         56
        .size:           8
        .value_kind:     by_value
      - .offset:         64
        .size:           4
        .value_kind:     by_value
    .group_segment_fixed_size: 0
    .kernarg_segment_align: 8
    .kernarg_segment_size: 68
    .language:       OpenCL C
    .language_version:
      - 2
      - 0
    .max_flat_workgroup_size: 1024
    .name:           _ZN9rocsparseL16ell2dense_kernelILi16ELi64ElfEEv21rocsparse_index_base_T1_S2_S2_PKT2_PKS2_PS3_l16rocsparse_order_
    .private_segment_fixed_size: 0
    .sgpr_count:     18
    .sgpr_spill_count: 0
    .symbol:         _ZN9rocsparseL16ell2dense_kernelILi16ELi64ElfEEv21rocsparse_index_base_T1_S2_S2_PKT2_PKS2_PS3_l16rocsparse_order_.kd
    .uniform_work_group_size: 1
    .uses_dynamic_stack: false
    .vgpr_count:     11
    .vgpr_spill_count: 0
    .wavefront_size: 32
  - .args:
      - .offset:         0
        .size:           4
        .value_kind:     by_value
      - .offset:         8
        .size:           8
        .value_kind:     by_value
      - .offset:         16
        .size:           8
        .value_kind:     by_value
      - .offset:         24
        .size:           8
        .value_kind:     by_value
      - .actual_access:  read_only
        .address_space:  global
        .offset:         32
        .size:           8
        .value_kind:     global_buffer
      - .actual_access:  read_only
        .address_space:  global
        .offset:         40
        .size:           8
        .value_kind:     global_buffer
      - .actual_access:  write_only
        .address_space:  global
        .offset:         48
        .size:           8
        .value_kind:     global_buffer
      - .offset:         56
        .size:           8
        .value_kind:     by_value
      - .offset:         64
        .size:           4
        .value_kind:     by_value
    .group_segment_fixed_size: 0
    .kernarg_segment_align: 8
    .kernarg_segment_size: 68
    .language:       OpenCL C
    .language_version:
      - 2
      - 0
    .max_flat_workgroup_size: 512
    .name:           _ZN9rocsparseL16ell2dense_kernelILi16ELi32EldEEv21rocsparse_index_base_T1_S2_S2_PKT2_PKS2_PS3_l16rocsparse_order_
    .private_segment_fixed_size: 0
    .sgpr_count:     18
    .sgpr_spill_count: 0
    .symbol:         _ZN9rocsparseL16ell2dense_kernelILi16ELi32EldEEv21rocsparse_index_base_T1_S2_S2_PKT2_PKS2_PS3_l16rocsparse_order_.kd
    .uniform_work_group_size: 1
    .uses_dynamic_stack: false
    .vgpr_count:     12
    .vgpr_spill_count: 0
    .wavefront_size: 32
  - .args:
      - .offset:         0
        .size:           4
        .value_kind:     by_value
      - .offset:         8
        .size:           8
        .value_kind:     by_value
      - .offset:         16
        .size:           8
        .value_kind:     by_value
      - .offset:         24
        .size:           8
        .value_kind:     by_value
      - .actual_access:  read_only
        .address_space:  global
        .offset:         32
        .size:           8
        .value_kind:     global_buffer
      - .actual_access:  read_only
        .address_space:  global
        .offset:         40
        .size:           8
        .value_kind:     global_buffer
      - .actual_access:  write_only
        .address_space:  global
        .offset:         48
        .size:           8
        .value_kind:     global_buffer
      - .offset:         56
        .size:           8
        .value_kind:     by_value
      - .offset:         64
        .size:           4
        .value_kind:     by_value
    .group_segment_fixed_size: 0
    .kernarg_segment_align: 8
    .kernarg_segment_size: 68
    .language:       OpenCL C
    .language_version:
      - 2
      - 0
    .max_flat_workgroup_size: 1024
    .name:           _ZN9rocsparseL16ell2dense_kernelILi16ELi64EldEEv21rocsparse_index_base_T1_S2_S2_PKT2_PKS2_PS3_l16rocsparse_order_
    .private_segment_fixed_size: 0
    .sgpr_count:     18
    .sgpr_spill_count: 0
    .symbol:         _ZN9rocsparseL16ell2dense_kernelILi16ELi64EldEEv21rocsparse_index_base_T1_S2_S2_PKT2_PKS2_PS3_l16rocsparse_order_.kd
    .uniform_work_group_size: 1
    .uses_dynamic_stack: false
    .vgpr_count:     12
    .vgpr_spill_count: 0
    .wavefront_size: 32
  - .args:
      - .offset:         0
        .size:           4
        .value_kind:     by_value
      - .offset:         8
        .size:           8
        .value_kind:     by_value
      - .offset:         16
        .size:           8
        .value_kind:     by_value
      - .offset:         24
        .size:           8
        .value_kind:     by_value
      - .actual_access:  read_only
        .address_space:  global
        .offset:         32
        .size:           8
        .value_kind:     global_buffer
      - .actual_access:  read_only
        .address_space:  global
        .offset:         40
        .size:           8
        .value_kind:     global_buffer
      - .actual_access:  write_only
        .address_space:  global
        .offset:         48
        .size:           8
        .value_kind:     global_buffer
      - .offset:         56
        .size:           8
        .value_kind:     by_value
      - .offset:         64
        .size:           4
        .value_kind:     by_value
    .group_segment_fixed_size: 0
    .kernarg_segment_align: 8
    .kernarg_segment_size: 68
    .language:       OpenCL C
    .language_version:
      - 2
      - 0
    .max_flat_workgroup_size: 512
    .name:           _ZN9rocsparseL16ell2dense_kernelILi16ELi32El21rocsparse_complex_numIfEEEv21rocsparse_index_base_T1_S4_S4_PKT2_PKS4_PS5_l16rocsparse_order_
    .private_segment_fixed_size: 0
    .sgpr_count:     18
    .sgpr_spill_count: 0
    .symbol:         _ZN9rocsparseL16ell2dense_kernelILi16ELi32El21rocsparse_complex_numIfEEEv21rocsparse_index_base_T1_S4_S4_PKT2_PKS4_PS5_l16rocsparse_order_.kd
    .uniform_work_group_size: 1
    .uses_dynamic_stack: false
    .vgpr_count:     12
    .vgpr_spill_count: 0
    .wavefront_size: 32
  - .args:
      - .offset:         0
        .size:           4
        .value_kind:     by_value
      - .offset:         8
        .size:           8
        .value_kind:     by_value
      - .offset:         16
        .size:           8
        .value_kind:     by_value
      - .offset:         24
        .size:           8
        .value_kind:     by_value
      - .actual_access:  read_only
        .address_space:  global
        .offset:         32
        .size:           8
        .value_kind:     global_buffer
      - .actual_access:  read_only
        .address_space:  global
        .offset:         40
        .size:           8
        .value_kind:     global_buffer
      - .actual_access:  write_only
        .address_space:  global
        .offset:         48
        .size:           8
        .value_kind:     global_buffer
      - .offset:         56
        .size:           8
        .value_kind:     by_value
      - .offset:         64
        .size:           4
        .value_kind:     by_value
    .group_segment_fixed_size: 0
    .kernarg_segment_align: 8
    .kernarg_segment_size: 68
    .language:       OpenCL C
    .language_version:
      - 2
      - 0
    .max_flat_workgroup_size: 1024
    .name:           _ZN9rocsparseL16ell2dense_kernelILi16ELi64El21rocsparse_complex_numIfEEEv21rocsparse_index_base_T1_S4_S4_PKT2_PKS4_PS5_l16rocsparse_order_
    .private_segment_fixed_size: 0
    .sgpr_count:     18
    .sgpr_spill_count: 0
    .symbol:         _ZN9rocsparseL16ell2dense_kernelILi16ELi64El21rocsparse_complex_numIfEEEv21rocsparse_index_base_T1_S4_S4_PKT2_PKS4_PS5_l16rocsparse_order_.kd
    .uniform_work_group_size: 1
    .uses_dynamic_stack: false
    .vgpr_count:     12
    .vgpr_spill_count: 0
    .wavefront_size: 32
  - .args:
      - .offset:         0
        .size:           4
        .value_kind:     by_value
      - .offset:         8
        .size:           8
        .value_kind:     by_value
      - .offset:         16
        .size:           8
        .value_kind:     by_value
      - .offset:         24
        .size:           8
        .value_kind:     by_value
      - .actual_access:  read_only
        .address_space:  global
        .offset:         32
        .size:           8
        .value_kind:     global_buffer
      - .actual_access:  read_only
        .address_space:  global
        .offset:         40
        .size:           8
        .value_kind:     global_buffer
      - .actual_access:  write_only
        .address_space:  global
        .offset:         48
        .size:           8
        .value_kind:     global_buffer
      - .offset:         56
        .size:           8
        .value_kind:     by_value
      - .offset:         64
        .size:           4
        .value_kind:     by_value
    .group_segment_fixed_size: 0
    .kernarg_segment_align: 8
    .kernarg_segment_size: 68
    .language:       OpenCL C
    .language_version:
      - 2
      - 0
    .max_flat_workgroup_size: 512
    .name:           _ZN9rocsparseL16ell2dense_kernelILi16ELi32El21rocsparse_complex_numIdEEEv21rocsparse_index_base_T1_S4_S4_PKT2_PKS4_PS5_l16rocsparse_order_
    .private_segment_fixed_size: 0
    .sgpr_count:     18
    .sgpr_spill_count: 0
    .symbol:         _ZN9rocsparseL16ell2dense_kernelILi16ELi32El21rocsparse_complex_numIdEEEv21rocsparse_index_base_T1_S4_S4_PKT2_PKS4_PS5_l16rocsparse_order_.kd
    .uniform_work_group_size: 1
    .uses_dynamic_stack: false
    .vgpr_count:     14
    .vgpr_spill_count: 0
    .wavefront_size: 32
  - .args:
      - .offset:         0
        .size:           4
        .value_kind:     by_value
      - .offset:         8
        .size:           8
        .value_kind:     by_value
      - .offset:         16
        .size:           8
        .value_kind:     by_value
      - .offset:         24
        .size:           8
        .value_kind:     by_value
      - .actual_access:  read_only
        .address_space:  global
        .offset:         32
        .size:           8
        .value_kind:     global_buffer
      - .actual_access:  read_only
        .address_space:  global
        .offset:         40
        .size:           8
        .value_kind:     global_buffer
      - .actual_access:  write_only
        .address_space:  global
        .offset:         48
        .size:           8
        .value_kind:     global_buffer
      - .offset:         56
        .size:           8
        .value_kind:     by_value
      - .offset:         64
        .size:           4
        .value_kind:     by_value
    .group_segment_fixed_size: 0
    .kernarg_segment_align: 8
    .kernarg_segment_size: 68
    .language:       OpenCL C
    .language_version:
      - 2
      - 0
    .max_flat_workgroup_size: 1024
    .name:           _ZN9rocsparseL16ell2dense_kernelILi16ELi64El21rocsparse_complex_numIdEEEv21rocsparse_index_base_T1_S4_S4_PKT2_PKS4_PS5_l16rocsparse_order_
    .private_segment_fixed_size: 0
    .sgpr_count:     18
    .sgpr_spill_count: 0
    .symbol:         _ZN9rocsparseL16ell2dense_kernelILi16ELi64El21rocsparse_complex_numIdEEEv21rocsparse_index_base_T1_S4_S4_PKT2_PKS4_PS5_l16rocsparse_order_.kd
    .uniform_work_group_size: 1
    .uses_dynamic_stack: false
    .vgpr_count:     14
    .vgpr_spill_count: 0
    .wavefront_size: 32
amdhsa.target:   amdgcn-amd-amdhsa--gfx1250
amdhsa.version:
  - 1
  - 2
...

	.end_amdgpu_metadata
